;; amdgpu-corpus repo=ROCm/rocFFT kind=compiled arch=gfx950 opt=O3
	.text
	.amdgcn_target "amdgcn-amd-amdhsa--gfx950"
	.amdhsa_code_object_version 6
	.protected	bluestein_single_back_len1053_dim1_sp_op_CI_CI ; -- Begin function bluestein_single_back_len1053_dim1_sp_op_CI_CI
	.globl	bluestein_single_back_len1053_dim1_sp_op_CI_CI
	.p2align	8
	.type	bluestein_single_back_len1053_dim1_sp_op_CI_CI,@function
bluestein_single_back_len1053_dim1_sp_op_CI_CI: ; @bluestein_single_back_len1053_dim1_sp_op_CI_CI
; %bb.0:
	s_load_dwordx4 s[12:15], s[0:1], 0x28
	v_mul_u32_u24_e32 v1, 0x231, v0
	v_add_u32_sdwa v78, s2, v1 dst_sel:DWORD dst_unused:UNUSED_PAD src0_sel:DWORD src1_sel:WORD_1
	v_mov_b32_e32 v79, 0
	s_waitcnt lgkmcnt(0)
	v_cmp_gt_u64_e32 vcc, s[12:13], v[78:79]
	s_and_saveexec_b64 s[2:3], vcc
	s_cbranch_execz .LBB0_10
; %bb.1:
	s_load_dwordx4 s[4:7], s[0:1], 0x18
	s_load_dwordx4 s[8:11], s[0:1], 0x0
	v_mov_b32_e32 v2, s14
	v_mov_b32_e32 v3, s15
	s_movk_i32 s2, 0x75
	s_waitcnt lgkmcnt(0)
	s_load_dwordx4 s[12:15], s[4:5], 0x0
	v_mul_lo_u16_sdwa v1, v1, s2 dst_sel:DWORD dst_unused:UNUSED_PAD src0_sel:WORD_1 src1_sel:DWORD
	v_sub_u16_e32 v82, v0, v1
	v_mov_b32_e32 v20, 0xaf8
	v_lshlrev_b32_e32 v68, 3, v82
	s_waitcnt lgkmcnt(0)
	v_mad_u64_u32 v[0:1], s[2:3], s14, v78, 0
	v_mov_b32_e32 v4, v1
	v_mad_u64_u32 v[4:5], s[2:3], s15, v78, v[4:5]
	v_mov_b32_e32 v1, v4
	v_mad_u64_u32 v[4:5], s[2:3], s12, v82, 0
	v_mov_b32_e32 v6, v5
	v_mad_u64_u32 v[6:7], s[2:3], s13, v82, v[6:7]
	v_mov_b32_e32 v5, v6
	v_lshl_add_u64 v[0:1], v[0:1], 3, v[2:3]
	v_lshl_add_u64 v[0:1], v[4:5], 3, v[0:1]
	global_load_dwordx2 v[2:3], v[0:1], off
	v_mad_u64_u32 v[0:1], s[2:3], s12, v20, v[0:1]
	s_mul_i32 s4, s13, 0xaf8
	v_add_u32_e32 v1, s4, v1
	v_mov_b32_e32 v69, v79
	v_mad_u64_u32 v[6:7], s[2:3], s12, v20, v[0:1]
	v_lshl_add_u64 v[4:5], s[8:9], 0, v[68:69]
	s_movk_i32 s2, 0x1000
	global_load_dwordx2 v[90:91], v68, s[8:9]
	global_load_dwordx2 v[88:89], v68, s[8:9] offset:2808
	v_add_u32_e32 v7, s4, v7
	global_load_dwordx2 v[8:9], v[0:1], off
	global_load_dwordx2 v[10:11], v[6:7], off
	v_add_co_u32_e32 v0, vcc, s2, v4
	v_mov_b32_e32 v16, 0xffffedb8
	s_nop 0
	v_addc_co_u32_e32 v1, vcc, 0, v5, vcc
	v_mad_u64_u32 v[4:5], s[2:3], s12, v16, v[6:7]
	s_mul_i32 s2, s13, 0xffffedb8
	s_sub_i32 s5, s2, s12
	v_add_u32_e32 v5, s5, v5
	global_load_dwordx2 v[84:85], v[0:1], off offset:1520
	global_load_dwordx2 v[86:87], v68, s[8:9] offset:936
	global_load_dwordx2 v[6:7], v[4:5], off
	v_mad_u64_u32 v[4:5], s[2:3], s12, v20, v[4:5]
	v_add_u32_e32 v5, s4, v5
	global_load_dwordx2 v[12:13], v[4:5], off
	global_load_dwordx2 v[76:77], v68, s[8:9] offset:3744
	v_mad_u64_u32 v[4:5], s[2:3], s12, v20, v[4:5]
	v_add_u32_e32 v5, s4, v5
	global_load_dwordx2 v[14:15], v[4:5], off
	global_load_dwordx2 v[74:75], v[0:1], off offset:2456
	v_mad_u64_u32 v[4:5], s[2:3], s12, v16, v[4:5]
	v_add_u32_e32 v5, s5, v5
	global_load_dwordx2 v[16:17], v[4:5], off
	global_load_dwordx2 v[72:73], v68, s[8:9] offset:1872
	v_mad_u64_u32 v[4:5], s[2:3], s12, v20, v[4:5]
	v_add_u32_e32 v5, s4, v5
	global_load_dwordx2 v[18:19], v[4:5], off
	global_load_dwordx2 v[70:71], v[0:1], off offset:3392
	global_load_dwordx2 v[80:81], v[0:1], off offset:584
	v_mad_u64_u32 v[0:1], s[2:3], s12, v20, v[4:5]
	v_add_u32_e32 v1, s4, v1
	global_load_dwordx2 v[0:1], v[0:1], off
	v_add_u32_e32 v24, 0xc00, v68
	s_mov_b32 s4, 0
	v_add_u32_e32 v22, 0x1400, v68
	v_mov_b32_e32 v83, s4
	s_load_dwordx4 s[4:7], s[6:7], 0x0
	s_mov_b64 s[2:3], 0x75
	v_lshl_add_u64 v[94:95], v[82:83], 0, s[2:3]
	s_mov_b64 s[2:3], 0xea
	v_lshl_add_u64 v[96:97], v[82:83], 0, s[2:3]
	s_mov_b32 s2, 0x3f5db3d7
	v_add_u32_e32 v34, 0x400, v68
	s_load_dwordx2 s[12:13], s[0:1], 0x38
	s_movk_i32 s0, 0x51
	v_cmp_gt_u16_e32 vcc, s0, v82
	s_movk_i32 s0, 0x50
	v_cmp_lt_u16_e64 s[0:1], s0, v82
	s_waitcnt vmcnt(16)
	v_mul_f32_e32 v4, v3, v91
	v_mul_f32_e32 v5, v2, v91
	v_fmac_f32_e32 v4, v2, v90
	v_fma_f32 v5, v3, v90, -v5
	s_waitcnt vmcnt(14)
	v_mul_f32_e32 v2, v9, v89
	v_mul_f32_e32 v3, v8, v89
	v_fmac_f32_e32 v2, v8, v88
	v_fma_f32 v3, v9, v88, -v3
	ds_write_b64 v68, v[2:3] offset:2808
	s_waitcnt vmcnt(12)
	v_mul_f32_e32 v2, v11, v85
	v_mul_f32_e32 v3, v10, v85
	v_fmac_f32_e32 v2, v10, v84
	v_fma_f32 v3, v11, v84, -v3
	ds_write_b64 v68, v[2:3] offset:5616
	s_waitcnt vmcnt(10)
	v_mul_f32_e32 v2, v7, v87
	v_mul_f32_e32 v3, v6, v87
	v_fmac_f32_e32 v2, v6, v86
	v_fma_f32 v3, v7, v86, -v3
	ds_write2_b64 v68, v[4:5], v[2:3] offset1:117
	s_waitcnt vmcnt(8)
	v_mul_f32_e32 v2, v13, v77
	v_mul_f32_e32 v3, v12, v77
	v_fmac_f32_e32 v2, v12, v76
	s_waitcnt vmcnt(4)
	v_mul_f32_e32 v6, v17, v73
	v_mul_f32_e32 v7, v16, v73
	v_fmac_f32_e32 v6, v16, v72
	v_fma_f32 v7, v17, v72, -v7
	ds_write_b64 v68, v[6:7] offset:1872
	s_waitcnt vmcnt(1)
	v_mul_f32_e32 v6, v19, v81
	v_mul_f32_e32 v7, v18, v81
	v_fma_f32 v3, v13, v76, -v3
	v_fmac_f32_e32 v6, v18, v80
	v_fma_f32 v7, v19, v80, -v7
	ds_write2_b64 v24, v[2:3], v[6:7] offset0:84 offset1:201
	s_waitcnt vmcnt(0)
	v_mul_f32_e32 v2, v1, v71
	v_mul_f32_e32 v4, v15, v75
	;; [unrolled: 1-line block ×3, first 2 shown]
	v_fmac_f32_e32 v2, v0, v70
	v_mul_f32_e32 v0, v0, v71
	v_fmac_f32_e32 v4, v14, v74
	v_fma_f32 v5, v15, v74, -v5
	v_fma_f32 v3, v1, v70, -v0
	v_add_u32_e32 v0, 0x1800, v68
	ds_write2_b64 v0, v[4:5], v[2:3] offset0:51 offset1:168
	s_waitcnt lgkmcnt(0)
	s_barrier
	ds_read2_b64 v[0:3], v68 offset1:117
	ds_read2_b64 v[4:7], v24 offset0:84 offset1:201
	ds_read2_b64 v[8:11], v22 offset0:62 offset1:179
	v_mul_lo_u16_e32 v12, 3, v82
	v_lshlrev_b32_e32 v79, 3, v12
	v_mul_u32_u24_e32 v12, 3, v94
	v_lshlrev_b32_e32 v69, 3, v12
	s_waitcnt lgkmcnt(0)
	v_pk_add_f32 v[14:15], v[4:5], v[10:11]
	v_pk_add_f32 v[12:13], v[2:3], v[4:5]
	v_pk_fma_f32 v[14:15], v[14:15], 0.5, v[2:3] op_sel_hi:[1,0,1] neg_lo:[1,0,0] neg_hi:[1,0,0]
	v_pk_add_f32 v[2:3], v[4:5], v[10:11] neg_lo:[0,1] neg_hi:[0,1]
	v_pk_add_f32 v[12:13], v[12:13], v[10:11]
	v_pk_mul_f32 v[10:11], v[2:3], s[2:3] op_sel_hi:[1,0]
	ds_read2_b64 v[2:5], v34 offset0:106 offset1:223
	v_pk_add_f32 v[16:17], v[14:15], v[10:11] op_sel:[0,1] op_sel_hi:[1,0]
	v_pk_add_f32 v[10:11], v[14:15], v[10:11] op_sel:[0,1] op_sel_hi:[1,0] neg_lo:[0,1] neg_hi:[0,1]
	v_mul_u32_u24_e32 v14, 3, v96
	v_lshlrev_b32_e32 v83, 3, v14
	s_waitcnt lgkmcnt(0)
	v_pk_add_f32 v[18:19], v[4:5], v[8:9]
	ds_read_b64 v[14:15], v68 offset:7488
	v_pk_fma_f32 v[18:19], v[18:19], 0.5, v[0:1] op_sel_hi:[1,0,1] neg_lo:[1,0,0] neg_hi:[1,0,0]
	v_pk_add_f32 v[0:1], v[0:1], v[4:5]
	v_pk_add_f32 v[4:5], v[4:5], v[8:9] neg_lo:[0,1] neg_hi:[0,1]
	v_pk_add_f32 v[0:1], v[0:1], v[8:9]
	v_pk_mul_f32 v[4:5], v[4:5], s[2:3] op_sel_hi:[1,0]
	s_waitcnt lgkmcnt(0)
	v_pk_add_f32 v[8:9], v[18:19], v[4:5] op_sel:[0,1] op_sel_hi:[1,0]
	v_pk_add_f32 v[4:5], v[18:19], v[4:5] op_sel:[0,1] op_sel_hi:[1,0] neg_lo:[0,1] neg_hi:[0,1]
	v_mov_b32_e32 v18, v8
	v_mov_b32_e32 v19, v5
	s_barrier
	ds_write2_b64 v79, v[0:1], v[18:19] offset1:1
	v_mov_b32_e32 v5, v9
	v_mov_b32_e32 v0, v16
	;; [unrolled: 1-line block ×3, first 2 shown]
	ds_write_b64 v79, v[4:5] offset:16
	ds_write2_b64 v69, v[12:13], v[0:1] offset1:1
	v_pk_add_f32 v[0:1], v[6:7], v[14:15]
	v_pk_add_f32 v[20:21], v[2:3], v[6:7]
	v_pk_fma_f32 v[0:1], v[0:1], 0.5, v[2:3] op_sel_hi:[1,0,1] neg_lo:[1,0,0] neg_hi:[1,0,0]
	v_pk_add_f32 v[2:3], v[6:7], v[14:15] neg_lo:[0,1] neg_hi:[0,1]
	v_mov_b32_e32 v11, v17
	v_pk_mul_f32 v[2:3], v[2:3], s[2:3] op_sel_hi:[1,0]
	s_movk_i32 s3, 0xab
	v_pk_add_f32 v[4:5], v[0:1], v[2:3] op_sel:[0,1] op_sel_hi:[1,0]
	v_pk_add_f32 v[0:1], v[0:1], v[2:3] op_sel:[0,1] op_sel_hi:[1,0] neg_lo:[0,1] neg_hi:[0,1]
	ds_write_b64 v69, v[10:11] offset:16
	v_mov_b32_e32 v3, v1
	v_mov_b32_e32 v1, v5
	ds_write_b64 v83, v[0:1] offset:16
	v_mul_lo_u16_sdwa v0, v82, s3 dst_sel:DWORD dst_unused:UNUSED_PAD src0_sel:BYTE_0 src1_sel:DWORD
	v_lshrrev_b16_e32 v50, 9, v0
	v_mul_lo_u16_e32 v0, 3, v50
	v_mul_lo_u16_sdwa v1, v94, s3 dst_sel:DWORD dst_unused:UNUSED_PAD src0_sel:BYTE_0 src1_sel:DWORD
	s_mov_b32 s3, 0xaaab
	v_sub_u16_e32 v0, v82, v0
	v_mul_u32_u24_sdwa v8, v96, s3 dst_sel:DWORD dst_unused:UNUSED_PAD src0_sel:WORD_0 src1_sel:DWORD
	v_and_b32_e32 v51, 0xff, v0
	v_lshrrev_b32_e32 v54, 17, v8
	v_pk_add_f32 v[20:21], v[20:21], v[14:15]
	v_mov_b32_e32 v2, v4
	v_lshlrev_b32_e32 v0, 4, v51
	v_mul_lo_u16_e32 v8, 3, v54
	ds_write2_b64 v83, v[20:21], v[2:3] offset1:1
	s_waitcnt lgkmcnt(0)
	s_barrier
	global_load_dwordx4 v[4:7], v0, s[10:11]
	v_sub_u16_e32 v55, v96, v8
	v_lshrrev_b16_e32 v52, 9, v1
	v_lshlrev_b16_e32 v8, 1, v55
	v_mul_lo_u16_e32 v1, 3, v52
	v_lshlrev_b32_e32 v8, 3, v8
	global_load_dwordx4 v[8:11], v8, s[10:11]
	v_sub_u16_e32 v0, v94, v1
	v_and_b32_e32 v53, 0xff, v0
	v_lshlrev_b32_e32 v0, 4, v53
	global_load_dwordx4 v[0:3], v0, s[10:11]
	ds_read2_b64 v[12:15], v22 offset0:62 offset1:179
	s_waitcnt vmcnt(2)
	v_mov_b32_e32 v64, v7
	s_waitcnt lgkmcnt(0)
	v_pk_mul_f32 v[16:17], v[12:13], v[64:65] op_sel_hi:[1,0]
	v_mov_b32_e32 v92, v4
	v_pk_fma_f32 v[20:21], v[12:13], v[6:7], v[16:17] op_sel:[0,0,1] op_sel_hi:[1,1,0] neg_lo:[0,0,1] neg_hi:[0,0,1]
	v_pk_fma_f32 v[22:23], v[12:13], v[6:7], v[16:17] op_sel:[0,0,1] op_sel_hi:[1,0,0]
	ds_read2_b64 v[16:19], v24 offset0:84 offset1:201
	s_waitcnt vmcnt(1)
	v_mov_b32_e32 v60, v9
	v_mov_b32_e32 v66, v11
	v_mov_b32_e32 v21, v23
	s_waitcnt vmcnt(0)
	v_pk_mul_f32 v[12:13], v[14:15], v[2:3] op_sel_hi:[1,0]
	v_mov_b32_e32 v22, v3
	v_pk_fma_f32 v[24:25], v[14:15], v[22:23], v[12:13] op_sel:[0,0,1] op_sel_hi:[1,0,0]
	v_pk_fma_f32 v[26:27], v[14:15], v[2:3], v[12:13] op_sel:[0,0,1] op_sel_hi:[1,1,0] neg_lo:[1,0,0] neg_hi:[1,0,0]
	s_waitcnt lgkmcnt(0)
	v_pk_mul_f32 v[12:13], v[16:17], v[0:1] op_sel_hi:[1,0]
	v_mov_b32_e32 v25, v27
	v_pk_fma_f32 v[28:29], v[16:17], v[0:1], v[12:13] op_sel:[0,0,1] op_sel_hi:[1,1,0] neg_lo:[1,0,0] neg_hi:[1,0,0]
	v_pk_fma_f32 v[30:31], v[16:17], v[0:1], v[12:13] op_sel:[0,1,1] op_sel_hi:[1,1,0]
	ds_read_b64 v[16:17], v68 offset:7488
	v_pk_mul_f32 v[12:13], v[18:19], v[8:9] op_sel_hi:[1,0]
	v_mov_b32_e32 v31, v29
	v_pk_fma_f32 v[32:33], v[18:19], v[60:61], v[12:13] op_sel:[0,0,1] op_sel_hi:[1,1,0]
	v_pk_fma_f32 v[18:19], v[18:19], v[8:9], v[12:13] op_sel:[0,1,1] op_sel_hi:[1,1,0] neg_lo:[1,0,0] neg_hi:[1,0,0]
	ds_read2_b64 v[12:15], v34 offset0:106 offset1:223
	s_waitcnt lgkmcnt(1)
	v_pk_mul_f32 v[34:35], v[16:17], v[10:11] op_sel_hi:[1,0]
	v_mov_b32_e32 v42, v19
	v_pk_fma_f32 v[36:37], v[16:17], v[66:67], v[34:35] op_sel:[0,0,1] op_sel_hi:[1,1,0]
	v_pk_fma_f32 v[34:35], v[16:17], v[66:67], v[34:35] op_sel:[0,0,1] op_sel_hi:[1,0,0] neg_lo:[1,0,0] neg_hi:[1,0,0]
	s_waitcnt lgkmcnt(0)
	v_pk_mul_f32 v[16:17], v[14:15], v[4:5] op_sel:[0,1]
	v_mov_b32_e32 v43, v32
	v_mov_b32_e32 v44, v35
	;; [unrolled: 1-line block ×3, first 2 shown]
	v_pk_fma_f32 v[38:39], v[14:15], v[92:93], v[16:17] op_sel:[0,0,1] op_sel_hi:[1,1,0] neg_lo:[0,0,1] neg_hi:[0,0,1]
	v_pk_fma_f32 v[40:41], v[14:15], v[4:5], v[16:17] op_sel:[0,0,1] op_sel_hi:[1,0,0]
	v_pk_add_f32 v[14:15], v[42:43], v[44:45]
	v_mov_b32_e32 v39, v41
	v_pk_fma_f32 v[48:49], v[14:15], 0.5, v[12:13] op_sel_hi:[1,0,1] neg_lo:[1,0,0] neg_hi:[1,0,0]
	ds_read2_b64 v[14:17], v68 offset1:117
	v_pk_add_f32 v[22:23], v[38:39], v[20:21]
	v_pk_add_f32 v[12:13], v[12:13], v[42:43]
	v_mov_b32_e32 v40, v29
	v_mov_b32_e32 v41, v30
	s_waitcnt lgkmcnt(0)
	v_pk_fma_f32 v[22:23], v[22:23], 0.5, v[14:15] op_sel_hi:[1,0,1] neg_lo:[1,0,0] neg_hi:[1,0,0]
	v_mov_b32_e32 v42, v27
	v_mov_b32_e32 v43, v24
	v_pk_add_f32 v[14:15], v[14:15], v[38:39]
	v_pk_add_f32 v[38:39], v[38:39], v[20:21] neg_lo:[0,1] neg_hi:[0,1]
	v_pk_add_f32 v[46:47], v[40:41], v[42:43]
	v_pk_mul_f32 v[38:39], v[38:39], s[2:3] op_sel_hi:[1,0]
	v_pk_fma_f32 v[46:47], v[46:47], 0.5, v[16:17] op_sel_hi:[1,0,1] neg_lo:[1,0,0] neg_hi:[1,0,0]
	v_pk_add_f32 v[16:17], v[16:17], v[40:41]
	v_pk_add_f32 v[40:41], v[22:23], v[38:39] op_sel:[0,1] op_sel_hi:[1,0] neg_lo:[0,1] neg_hi:[0,1]
	v_pk_add_f32 v[62:63], v[38:39], v[22:23] op_sel:[1,0] op_sel_hi:[0,1]
	v_mov_b32_e32 v33, v19
	v_mov_b32_e32 v37, v35
	v_mul_u32_u24_e32 v4, 9, v50
	v_pk_add_f32 v[42:43], v[16:17], v[42:43]
	v_pk_add_f32 v[16:17], v[30:31], v[24:25] neg_lo:[0,1] neg_hi:[0,1]
	v_pk_add_f32 v[18:19], v[32:33], v[36:37] neg_lo:[0,1] neg_hi:[0,1]
	v_add_lshl_u32 v95, v4, v51, 3
	v_pk_add_f32 v[36:37], v[14:15], v[20:21]
	v_mov_b32_e32 v14, v62
	v_mov_b32_e32 v15, v41
	s_barrier
	ds_write2_b64 v95, v[36:37], v[14:15] offset1:3
	v_mov_b32_e32 v14, v40
	v_mov_b32_e32 v15, v63
	v_mul_u32_u24_e32 v4, 9, v52
	v_pk_fma_f32 v[98:99], v[16:17], s[2:3], v[46:47] op_sel_hi:[1,0,1]
	v_pk_fma_f32 v[46:47], v[16:17], s[2:3], v[46:47] op_sel_hi:[1,0,1] neg_lo:[1,0,0] neg_hi:[1,0,0]
	ds_write_b64 v95, v[14:15] offset:48
	v_add_lshl_u32 v97, v4, v53, 3
	v_mov_b32_e32 v14, v98
	v_mov_b32_e32 v15, v47
	v_mad_legacy_u16 v4, v54, 9, v55
	v_pk_fma_f32 v[100:101], v[18:19], s[2:3], v[48:49] op_sel_hi:[1,0,1]
	v_pk_fma_f32 v[48:49], v[18:19], s[2:3], v[48:49] op_sel_hi:[1,0,1] neg_lo:[1,0,0] neg_hi:[1,0,0]
	ds_write2_b64 v97, v[42:43], v[14:15] offset1:3
	v_mov_b32_e32 v14, v46
	v_mov_b32_e32 v15, v99
	v_pk_add_f32 v[52:53], v[12:13], v[44:45]
	v_lshlrev_b32_e32 v230, 3, v4
	v_mov_b32_e32 v12, v100
	v_mov_b32_e32 v13, v49
	ds_write_b64 v97, v[14:15] offset:48
	ds_write2_b64 v230, v[52:53], v[12:13] offset1:3
	v_mov_b32_e32 v12, v48
	v_mov_b32_e32 v13, v101
	ds_write_b64 v230, v[12:13] offset:48
	s_waitcnt lgkmcnt(0)
	s_barrier
	s_and_saveexec_b64 s[2:3], s[0:1]
	s_xor_b64 s[2:3], exec, s[2:3]
	s_or_saveexec_b64 s[2:3], s[2:3]
                                        ; implicit-def: $vgpr4
                                        ; implicit-def: $vgpr56
                                        ; implicit-def: $vgpr44
                                        ; implicit-def: $vgpr54
                                        ; implicit-def: $vgpr102
                                        ; implicit-def: $vgpr38
	s_xor_b64 exec, exec, s[2:3]
	s_cbranch_execz .LBB0_3
; %bb.2:
	v_add_u32_e32 v4, 0x800, v68
	ds_read2_b64 v[36:39], v68 offset1:81
	ds_read2_b64 v[40:43], v68 offset0:162 offset1:243
	ds_read2_b64 v[44:47], v4 offset0:68 offset1:149
	v_add_u32_e32 v4, 0xc00, v68
	ds_read2_b64 v[52:55], v4 offset0:102 offset1:183
	v_add_u32_e32 v4, 0x1000, v68
	;; [unrolled: 2-line block ×3, first 2 shown]
	ds_read2_b64 v[56:59], v4 offset0:42 offset1:123
	ds_read_b64 v[102:103], v68 offset:7776
	s_waitcnt lgkmcnt(3)
	v_mov_b32_e32 v100, v54
	v_mov_b32_e32 v98, v44
	s_waitcnt lgkmcnt(2)
	v_mov_b32_e32 v101, v49
	v_mov_b32_e32 v99, v47
	;; [unrolled: 1-line block ×8, first 2 shown]
	s_waitcnt lgkmcnt(1)
	v_mov_b32_e32 v44, v57
	v_mov_b32_e32 v54, v59
	s_waitcnt lgkmcnt(0)
	v_mov_b32_e32 v38, v103
.LBB0_3:
	s_or_b64 exec, exec, s[2:3]
	v_mov_b32_e32 v7, 57
	v_mul_lo_u16_sdwa v7, v82, v7 dst_sel:DWORD dst_unused:UNUSED_PAD src0_sel:BYTE_0 src1_sel:DWORD
	v_lshrrev_b16_e32 v228, 9, v7
	v_mul_lo_u16_e32 v7, 9, v228
	v_sub_u16_e32 v7, v82, v7
	v_and_b32_e32 v229, 0xff, v7
	s_movk_i32 s2, 0x60
	v_mov_b64_e32 v[12:13], s[10:11]
	v_mad_u64_u32 v[104:105], s[2:3], v229, s2, v[12:13]
	global_load_dwordx4 v[12:15], v[104:105], off offset:80
	global_load_dwordx4 v[16:19], v[104:105], off offset:112
	;; [unrolled: 1-line block ×6, first 2 shown]
	s_mov_b32 s18, 0xbf52af12
	s_mov_b32 s14, 0xbf6f5d39
	;; [unrolled: 1-line block ×15, first 2 shown]
	v_mov_b32_e32 v93, v92
	v_mov_b32_e32 v7, v6
	;; [unrolled: 1-line block ×7, first 2 shown]
	s_barrier
	s_waitcnt vmcnt(5)
	v_pk_mul_f32 v[106:107], v[52:53], v[14:15] op_sel:[1,0]
	s_waitcnt vmcnt(4)
	v_pk_mul_f32 v[44:45], v[44:45], v[18:19] op_sel_hi:[0,1]
	s_waitcnt vmcnt(3)
	v_pk_mul_f32 v[108:109], v[54:55], v[28:29] op_sel_hi:[0,1]
	s_waitcnt vmcnt(2)
	v_pk_mul_f32 v[116:117], v[40:41], v[24:25] op_sel:[1,0]
	s_waitcnt vmcnt(1)
	v_pk_mul_f32 v[120:121], v[46:47], v[22:23] op_sel:[1,0]
	;; [unrolled: 2-line block ×3, first 2 shown]
	v_pk_mul_f32 v[38:39], v[38:39], v[30:31] op_sel_hi:[0,1]
	v_pk_mul_f32 v[110:111], v[62:63], v[26:27] op_sel:[1,0]
	v_pk_mul_f32 v[118:119], v[98:99], v[12:13] op_sel:[1,0]
	;; [unrolled: 1-line block ×3, first 2 shown]
	v_pk_fma_f32 v[104:105], v[52:53], v[14:15], v[106:107] op_sel:[0,0,1] op_sel_hi:[1,1,0] neg_lo:[0,0,1] neg_hi:[0,0,1]
	v_pk_fma_f32 v[134:135], v[52:53], v[14:15], v[106:107] op_sel:[0,0,1] op_sel_hi:[0,1,0]
	v_pk_fma_f32 v[52:53], v[56:57], v[18:19], v[44:45] op_sel:[0,0,1] op_sel_hi:[1,1,0] neg_lo:[0,0,1] neg_hi:[0,0,1]
	v_pk_fma_f32 v[44:45], v[56:57], v[18:19], v[44:45] op_sel:[0,0,1] op_sel_hi:[0,1,0]
	;; [unrolled: 2-line block ×7, first 2 shown]
	v_pk_mul_f32 v[112:113], v[42:43], v[20:21] op_sel:[1,0]
	v_pk_fma_f32 v[108:109], v[40:41], v[26:27], v[110:111] op_sel:[0,0,1] op_sel_hi:[1,1,0] neg_lo:[0,0,1] neg_hi:[0,0,1]
	v_pk_fma_f32 v[40:41], v[40:41], v[26:27], v[110:111] op_sel:[0,0,1] op_sel_hi:[0,1,0]
	v_mov_b32_e32 v131, v59
	v_mov_b32_e32 v101, v39
	v_pk_fma_f32 v[114:115], v[42:43], v[20:21], v[112:113] op_sel:[0,0,1] op_sel_hi:[1,1,0] neg_lo:[0,0,1] neg_hi:[0,0,1]
	v_pk_fma_f32 v[42:43], v[42:43], v[20:21], v[112:113] op_sel:[0,0,1] op_sel_hi:[0,1,0]
	v_pk_fma_f32 v[112:113], v[46:47], v[12:13], v[118:119] op_sel:[0,0,1] op_sel_hi:[1,1,0] neg_lo:[0,0,1] neg_hi:[0,0,1]
	v_pk_fma_f32 v[46:47], v[46:47], v[12:13], v[118:119] op_sel:[0,0,1] op_sel_hi:[0,1,0]
	v_mov_b32_e32 v109, v41
	v_mov_b32_e32 v55, v57
	v_pk_add_f32 v[154:155], v[130:131], v[100:101] neg_lo:[0,1] neg_hi:[0,1]
	v_pk_mul_f32 v[122:123], v[4:5], v[16:17] op_sel_hi:[0,1]
	v_pk_fma_f32 v[106:107], v[48:49], v[34:35], v[124:125] op_sel:[0,0,1] op_sel_hi:[1,1,0] neg_lo:[0,0,1] neg_hi:[0,0,1]
	v_pk_fma_f32 v[48:49], v[48:49], v[34:35], v[124:125] op_sel:[0,0,1] op_sel_hi:[0,1,0]
	v_mov_b32_e32 v113, v47
	v_mov_b32_e32 v53, v45
	v_pk_add_f32 v[44:45], v[130:131], v[100:101]
	v_pk_add_f32 v[156:157], v[108:109], v[54:55] neg_lo:[0,1] neg_hi:[0,1]
	v_pk_mul_f32 v[46:47], v[154:155], s[18:19] op_sel:[1,0] op_sel_hi:[0,0]
	v_pk_fma_f32 v[110:111], v[50:51], v[16:17], v[122:123] op_sel:[0,0,1] op_sel_hi:[1,1,0] neg_lo:[0,0,1] neg_hi:[0,0,1]
	v_pk_fma_f32 v[50:51], v[50:51], v[16:17], v[122:123] op_sel:[0,0,1] op_sel_hi:[0,1,0]
	v_mov_b32_e32 v115, v43
	v_mov_b32_e32 v107, v49
	v_pk_add_f32 v[42:43], v[108:109], v[54:55]
	v_pk_mul_f32 v[48:49], v[156:157], s[14:15] op_sel:[1,0] op_sel_hi:[0,0]
	v_pk_fma_f32 v[122:123], v[44:45], s[16:17], v[46:47] op_sel_hi:[1,0,1]
	v_pk_fma_f32 v[124:125], v[44:45], s[16:17], v[46:47] op_sel_hi:[1,0,1] neg_lo:[0,0,1] neg_hi:[0,0,1]
	v_mov_b32_e32 v129, v63
	v_mov_b32_e32 v111, v51
	v_pk_add_f32 v[158:159], v[114:115], v[52:53] neg_lo:[0,1] neg_hi:[0,1]
	v_pk_fma_f32 v[118:119], v[42:43], s[2:3], v[48:49] op_sel_hi:[1,0,1]
	v_pk_fma_f32 v[120:121], v[42:43], s[2:3], v[48:49] op_sel_hi:[1,0,1] neg_lo:[0,0,1] neg_hi:[0,0,1]
	v_mov_b32_e32 v46, v122
	v_mov_b32_e32 v47, v125
	v_pk_add_f32 v[40:41], v[114:115], v[52:53]
	v_pk_mul_f32 v[50:51], v[158:159], s[24:25] op_sel:[1,0] op_sel_hi:[0,0]
	v_mov_b32_e32 v48, v118
	v_mov_b32_e32 v49, v121
	v_pk_add_f32 v[46:47], v[36:37], v[46:47]
	v_pk_add_f32 v[174:175], v[128:129], v[110:111] neg_lo:[0,1] neg_hi:[0,1]
	v_pk_add_f32 v[38:39], v[128:129], v[110:111]
	v_pk_fma_f32 v[102:103], v[40:41], s[22:23], v[50:51] op_sel_hi:[1,0,1]
	v_pk_fma_f32 v[116:117], v[40:41], s[22:23], v[50:51] op_sel_hi:[1,0,1] neg_lo:[0,0,1] neg_hi:[0,0,1]
	v_pk_add_f32 v[46:47], v[48:49], v[46:47]
	v_pk_mul_f32 v[48:49], v[174:175], s[38:39] op_sel:[1,0] op_sel_hi:[0,0]
	v_mov_b32_e32 v105, v135
	v_mov_b32_e32 v50, v102
	;; [unrolled: 1-line block ×3, first 2 shown]
	v_pk_fma_f32 v[132:133], v[38:39], s[20:21], v[48:49] op_sel_hi:[1,0,1]
	v_pk_fma_f32 v[134:135], v[38:39], s[20:21], v[48:49] op_sel_hi:[1,0,1] neg_lo:[0,0,1] neg_hi:[0,0,1]
	v_pk_add_f32 v[46:47], v[50:51], v[46:47]
	v_mov_b32_e32 v48, v132
	v_mov_b32_e32 v49, v135
	v_pk_add_f32 v[186:187], v[112:113], v[106:107] neg_lo:[0,1] neg_hi:[0,1]
	v_pk_add_f32 v[48:49], v[48:49], v[46:47]
	v_pk_add_f32 v[46:47], v[112:113], v[106:107]
	v_pk_mul_f32 v[50:51], v[186:187], s[28:29] op_sel:[1,0] op_sel_hi:[0,0]
	v_pk_fma_f32 v[136:137], v[46:47], s[26:27], v[50:51] op_sel_hi:[1,0,1]
	v_pk_fma_f32 v[138:139], v[46:47], s[26:27], v[50:51] op_sel_hi:[1,0,1] neg_lo:[0,0,1] neg_hi:[0,0,1]
	v_mov_b32_e32 v50, v136
	v_mov_b32_e32 v51, v139
	v_pk_add_f32 v[50:51], v[50:51], v[48:49]
	v_pk_mul_f32 v[48:49], v[154:155], s[42:43] op_sel:[1,0] op_sel_hi:[0,0]
	v_pk_fma_f32 v[140:141], v[44:45], s[26:27], v[48:49] op_sel_hi:[1,0,1]
	v_pk_fma_f32 v[142:143], v[44:45], s[26:27], v[48:49] op_sel_hi:[1,0,1] neg_lo:[0,0,1] neg_hi:[0,0,1]
	v_pk_mul_f32 v[56:57], v[156:157], s[24:25] op_sel:[1,0] op_sel_hi:[0,0]
	v_mov_b32_e32 v48, v140
	v_mov_b32_e32 v49, v143
	v_pk_fma_f32 v[144:145], v[42:43], s[22:23], v[56:57] op_sel_hi:[1,0,1]
	v_pk_fma_f32 v[146:147], v[42:43], s[22:23], v[56:57] op_sel_hi:[1,0,1] neg_lo:[0,0,1] neg_hi:[0,0,1]
	v_pk_add_f32 v[48:49], v[36:37], v[48:49]
	v_mov_b32_e32 v56, v144
	v_mov_b32_e32 v57, v147
	v_pk_add_f32 v[48:49], v[56:57], v[48:49]
	v_pk_mul_f32 v[56:57], v[158:159], s[30:31] op_sel:[1,0] op_sel_hi:[0,0]
	v_pk_fma_f32 v[148:149], v[40:41], s[2:3], v[56:57] op_sel_hi:[1,0,1]
	v_pk_fma_f32 v[150:151], v[40:41], s[2:3], v[56:57] op_sel_hi:[1,0,1] neg_lo:[0,0,1] neg_hi:[0,0,1]
	v_mov_b32_e32 v56, v148
	v_mov_b32_e32 v57, v151
	v_pk_add_f32 v[48:49], v[56:57], v[48:49]
	s_mov_b32 s30, 0x3f62ad3f
	v_pk_mul_f32 v[56:57], v[174:175], s[34:35] op_sel:[1,0] op_sel_hi:[0,0]
	v_pk_fma_f32 v[152:153], v[38:39], s[30:31], v[56:57] op_sel_hi:[1,0,1]
	v_pk_fma_f32 v[160:161], v[38:39], s[30:31], v[56:57] op_sel_hi:[1,0,1] neg_lo:[0,0,1] neg_hi:[0,0,1]
	v_mov_b32_e32 v56, v152
	v_mov_b32_e32 v57, v161
	v_pk_add_f32 v[48:49], v[56:57], v[48:49]
	v_pk_mul_f32 v[56:57], v[186:187], s[18:19] op_sel:[1,0] op_sel_hi:[0,0]
	v_mov_b32_e32 v127, v99
	v_pk_fma_f32 v[162:163], v[46:47], s[16:17], v[56:57] op_sel_hi:[1,0,1]
	v_pk_fma_f32 v[164:165], v[46:47], s[16:17], v[56:57] op_sel_hi:[1,0,1] neg_lo:[0,0,1] neg_hi:[0,0,1]
	v_mov_b32_e32 v56, v162
	v_mov_b32_e32 v57, v165
	v_pk_add_f32 v[198:199], v[104:105], v[126:127] neg_lo:[0,1] neg_hi:[0,1]
	v_pk_add_f32 v[56:57], v[56:57], v[48:49]
	v_pk_add_f32 v[48:49], v[104:105], v[126:127]
	v_pk_mul_f32 v[58:59], v[198:199], s[34:35] op_sel:[1,0] op_sel_hi:[0,0]
	v_pk_fma_f32 v[190:191], v[48:49], s[30:31], v[58:59] op_sel_hi:[1,0,1]
	v_pk_fma_f32 v[192:193], v[48:49], s[30:31], v[58:59] op_sel_hi:[1,0,1] neg_lo:[0,0,1] neg_hi:[0,0,1]
	v_mov_b32_e32 v58, v190
	v_mov_b32_e32 v59, v193
	v_pk_add_f32 v[58:59], v[58:59], v[50:51]
	v_pk_mul_f32 v[50:51], v[198:199], s[36:37] op_sel:[1,0] op_sel_hi:[0,0]
	v_pk_fma_f32 v[166:167], v[48:49], s[20:21], v[50:51] op_sel_hi:[1,0,1]
	v_pk_fma_f32 v[168:169], v[48:49], s[20:21], v[50:51] op_sel_hi:[1,0,1] neg_lo:[0,0,1] neg_hi:[0,0,1]
	v_mov_b32_e32 v50, v166
	v_mov_b32_e32 v51, v169
	v_pk_add_f32 v[56:57], v[50:51], v[56:57]
	v_pk_mul_f32 v[50:51], v[154:155], s[14:15] op_sel:[1,0] op_sel_hi:[0,0]
	v_pk_fma_f32 v[170:171], v[44:45], s[2:3], v[50:51] op_sel_hi:[1,0,1]
	v_pk_fma_f32 v[172:173], v[44:45], s[2:3], v[50:51] op_sel_hi:[1,0,1] neg_lo:[0,0,1] neg_hi:[0,0,1]
	v_pk_mul_f32 v[62:63], v[156:157], s[38:39] op_sel:[1,0] op_sel_hi:[0,0]
	v_mov_b32_e32 v50, v170
	v_mov_b32_e32 v51, v173
	v_pk_fma_f32 v[176:177], v[42:43], s[20:21], v[62:63] op_sel_hi:[1,0,1]
	v_pk_fma_f32 v[178:179], v[42:43], s[20:21], v[62:63] op_sel_hi:[1,0,1] neg_lo:[0,0,1] neg_hi:[0,0,1]
	v_pk_add_f32 v[50:51], v[36:37], v[50:51]
	v_mov_b32_e32 v62, v176
	v_mov_b32_e32 v63, v179
	v_pk_add_f32 v[50:51], v[62:63], v[50:51]
	v_pk_mul_f32 v[62:63], v[158:159], s[34:35] op_sel:[1,0] op_sel_hi:[0,0]
	v_pk_fma_f32 v[180:181], v[40:41], s[30:31], v[62:63] op_sel_hi:[1,0,1]
	v_pk_fma_f32 v[182:183], v[40:41], s[30:31], v[62:63] op_sel_hi:[1,0,1] neg_lo:[0,0,1] neg_hi:[0,0,1]
	v_mov_b32_e32 v62, v180
	v_mov_b32_e32 v63, v183
	v_pk_add_f32 v[50:51], v[62:63], v[50:51]
	v_pk_mul_f32 v[62:63], v[174:175], s[42:43] op_sel:[1,0] op_sel_hi:[0,0]
	v_pk_fma_f32 v[184:185], v[38:39], s[26:27], v[62:63] op_sel_hi:[1,0,1]
	v_pk_fma_f32 v[188:189], v[38:39], s[26:27], v[62:63] op_sel_hi:[1,0,1] neg_lo:[0,0,1] neg_hi:[0,0,1]
	;; [unrolled: 6-line block ×3, first 2 shown]
	v_mov_b32_e32 v62, v194
	v_mov_b32_e32 v63, v197
	s_mov_b32 s38, 0xbeedf032
	v_pk_add_f32 v[50:51], v[62:63], v[50:51]
	v_pk_mul_f32 v[62:63], v[154:155], s[38:39] op_sel:[1,0] op_sel_hi:[0,0]
	v_pk_fma_f32 v[204:205], v[44:45], s[30:31], v[62:63] op_sel_hi:[1,0,1]
	v_pk_fma_f32 v[206:207], v[44:45], s[30:31], v[62:63] op_sel_hi:[1,0,1] neg_lo:[0,0,1] neg_hi:[0,0,1]
	v_pk_mul_f32 v[98:99], v[156:157], s[18:19] op_sel:[1,0] op_sel_hi:[0,0]
	v_mov_b32_e32 v62, v204
	v_mov_b32_e32 v63, v207
	v_pk_fma_f32 v[208:209], v[42:43], s[16:17], v[98:99] op_sel_hi:[1,0,1]
	v_pk_fma_f32 v[210:211], v[42:43], s[16:17], v[98:99] op_sel_hi:[1,0,1] neg_lo:[0,0,1] neg_hi:[0,0,1]
	v_pk_add_f32 v[62:63], v[36:37], v[62:63]
	v_mov_b32_e32 v98, v208
	v_mov_b32_e32 v99, v211
	v_pk_add_f32 v[62:63], v[98:99], v[62:63]
	v_pk_mul_f32 v[98:99], v[158:159], s[42:43] op_sel:[1,0] op_sel_hi:[0,0]
	v_pk_fma_f32 v[212:213], v[40:41], s[26:27], v[98:99] op_sel_hi:[1,0,1]
	v_pk_fma_f32 v[214:215], v[40:41], s[26:27], v[98:99] op_sel_hi:[1,0,1] neg_lo:[0,0,1] neg_hi:[0,0,1]
	v_mov_b32_e32 v98, v212
	v_mov_b32_e32 v99, v215
	v_pk_add_f32 v[62:63], v[98:99], v[62:63]
	v_pk_mul_f32 v[98:99], v[174:175], s[14:15] op_sel:[1,0] op_sel_hi:[0,0]
	v_pk_fma_f32 v[216:217], v[38:39], s[2:3], v[98:99] op_sel_hi:[1,0,1]
	v_pk_fma_f32 v[218:219], v[38:39], s[2:3], v[98:99] op_sel_hi:[1,0,1] neg_lo:[0,0,1] neg_hi:[0,0,1]
	;; [unrolled: 6-line block ×4, first 2 shown]
	v_mov_b32_e32 v98, v224
	v_mov_b32_e32 v99, v227
	s_mov_b32 s42, 0x3f52af12
	v_pk_add_f32 v[98:99], v[98:99], v[62:63]
	v_pk_mul_f32 v[62:63], v[198:199], s[42:43] op_sel:[1,0] op_sel_hi:[0,0]
	v_pk_fma_f32 v[200:201], v[48:49], s[16:17], v[62:63] op_sel_hi:[1,0,1]
	v_pk_fma_f32 v[202:203], v[48:49], s[16:17], v[62:63] op_sel_hi:[1,0,1] neg_lo:[0,0,1] neg_hi:[0,0,1]
	v_mov_b32_e32 v62, v200
	v_mov_b32_e32 v63, v203
	;; [unrolled: 1-line block ×3, first 2 shown]
	v_pk_add_f32 v[62:63], v[62:63], v[50:51]
	v_mov_b32_e32 v51, 0
	s_and_saveexec_b64 s[38:39], vcc
	s_cbranch_execz .LBB0_5
; %bb.4:
	v_pk_add_f32 v[130:131], v[36:37], v[130:131]
	v_mov_b32_e32 v207, v205
	v_pk_add_f32 v[108:109], v[130:131], v[108:109]
	v_mov_b32_e32 v211, v209
	;; [unrolled: 2-line block ×5, first 2 shown]
	v_pk_add_f32 v[104:105], v[108:109], v[104:105]
	v_mul_u32_u24_e32 v50, 0x75, v228
	v_pk_add_f32 v[104:105], v[104:105], v[126:127]
	v_mov_b32_e32 v227, v225
	v_pk_add_f32 v[104:105], v[104:105], v[106:107]
	v_add_lshl_u32 v50, v50, v229, 3
	v_pk_add_f32 v[104:105], v[104:105], v[110:111]
	v_mov_b32_e32 v125, v123
	v_pk_add_f32 v[52:53], v[104:105], v[52:53]
	v_mov_b32_e32 v143, v141
	v_pk_add_f32 v[52:53], v[52:53], v[54:55]
	v_pk_add_f32 v[54:55], v[36:37], v[206:207]
	;; [unrolled: 1-line block ×4, first 2 shown]
	v_mov_b32_e32 v121, v119
	v_pk_add_f32 v[54:55], v[214:215], v[54:55]
	v_mov_b32_e32 v147, v145
	v_pk_add_f32 v[54:55], v[218:219], v[54:55]
	;; [unrolled: 2-line block ×4, first 2 shown]
	ds_write2_b64 v50, v[52:53], v[54:55] offset1:9
	v_pk_add_f32 v[52:53], v[36:37], v[124:125]
	v_pk_add_f32 v[54:55], v[36:37], v[142:143]
	;; [unrolled: 1-line block ×5, first 2 shown]
	v_mov_b32_e32 v135, v133
	v_pk_add_f32 v[54:55], v[150:151], v[54:55]
	v_mov_b32_e32 v161, v153
	v_pk_add_f32 v[52:53], v[134:135], v[52:53]
	;; [unrolled: 2-line block ×5, first 2 shown]
	v_mov_b32_e32 v169, v167
	v_mov_b32_e32 v232, v155
	;; [unrolled: 1-line block ×3, first 2 shown]
	v_pk_add_f32 v[52:53], v[192:193], v[52:53]
	v_pk_add_f32 v[54:55], v[168:169], v[54:55]
	v_mov_b32_e32 v154, v157
	v_mov_b32_e32 v155, v156
	ds_write2_b64 v50, v[52:53], v[54:55] offset0:18 offset1:27
	v_pk_mul_f32 v[54:55], v[232:233], s[36:37] op_sel_hi:[1,0]
	v_pk_mul_f32 v[104:105], v[154:155], s[28:29] op_sel_hi:[1,0]
	v_pk_fma_f32 v[100:101], v[44:45], s[20:21], v[54:55] op_sel_hi:[1,0,1] neg_lo:[0,0,1] neg_hi:[0,0,1]
	v_pk_fma_f32 v[54:55], v[44:45], s[20:21], v[54:55] op_sel_hi:[1,0,1]
	v_mov_b32_e32 v102, v100
	v_mov_b32_e32 v103, v55
	v_pk_fma_f32 v[106:107], v[42:43], s[26:27], v[104:105] op_sel_hi:[1,0,1] neg_lo:[0,0,1] neg_hi:[0,0,1]
	v_pk_fma_f32 v[104:105], v[42:43], s[26:27], v[104:105] op_sel_hi:[1,0,1]
	v_mov_b32_e32 v156, v159
	v_mov_b32_e32 v157, v158
	v_pk_add_f32 v[102:103], v[36:37], v[102:103]
	v_mov_b32_e32 v108, v106
	v_mov_b32_e32 v109, v105
	v_pk_add_f32 v[102:103], v[108:109], v[102:103]
	v_pk_mul_f32 v[108:109], v[156:157], s[18:19] op_sel_hi:[1,0]
	v_mov_b32_e32 v158, v175
	v_pk_fma_f32 v[110:111], v[40:41], s[16:17], v[108:109] op_sel_hi:[1,0,1] neg_lo:[0,0,1] neg_hi:[0,0,1]
	v_pk_fma_f32 v[108:109], v[40:41], s[16:17], v[108:109] op_sel_hi:[1,0,1]
	v_mov_b32_e32 v159, v174
	v_mov_b32_e32 v112, v110
	;; [unrolled: 1-line block ×3, first 2 shown]
	v_pk_add_f32 v[102:103], v[112:113], v[102:103]
	v_pk_mul_f32 v[112:113], v[158:159], s[40:41] op_sel_hi:[1,0]
	v_mov_b32_e32 v174, v187
	v_pk_fma_f32 v[114:115], v[38:39], s[22:23], v[112:113] op_sel_hi:[1,0,1] neg_lo:[0,0,1] neg_hi:[0,0,1]
	v_pk_fma_f32 v[112:113], v[38:39], s[22:23], v[112:113] op_sel_hi:[1,0,1]
	v_mov_b32_e32 v175, v186
	v_mov_b32_e32 v116, v114
	;; [unrolled: 1-line block ×4, first 2 shown]
	v_pk_add_f32 v[102:103], v[116:117], v[102:103]
	v_pk_mul_f32 v[116:117], v[174:175], s[34:35] op_sel_hi:[1,0]
	v_pk_add_f32 v[52:53], v[36:37], v[172:173]
	v_mov_b32_e32 v179, v177
	v_pk_fma_f32 v[118:119], v[46:47], s[30:31], v[116:117] op_sel_hi:[1,0,1] neg_lo:[0,0,1] neg_hi:[0,0,1]
	v_pk_fma_f32 v[116:117], v[46:47], s[30:31], v[116:117] op_sel_hi:[1,0,1]
	v_mov_b32_e32 v186, v199
	v_mov_b32_e32 v187, v198
	v_pk_add_f32 v[52:53], v[178:179], v[52:53]
	v_mov_b32_e32 v183, v181
	v_mov_b32_e32 v120, v118
	;; [unrolled: 1-line block ×3, first 2 shown]
	v_pk_add_f32 v[52:53], v[182:183], v[52:53]
	v_mov_b32_e32 v189, v185
	v_pk_add_f32 v[102:103], v[120:121], v[102:103]
	v_pk_mul_f32 v[120:121], v[186:187], s[14:15] op_sel_hi:[1,0]
	v_pk_add_f32 v[52:53], v[188:189], v[52:53]
	v_mov_b32_e32 v197, v195
	v_pk_fma_f32 v[122:123], v[48:49], s[2:3], v[120:121] op_sel_hi:[1,0,1] neg_lo:[0,0,1] neg_hi:[0,0,1]
	v_pk_fma_f32 v[120:121], v[48:49], s[2:3], v[120:121] op_sel_hi:[1,0,1]
	v_pk_add_f32 v[52:53], v[196:197], v[52:53]
	v_mov_b32_e32 v203, v201
	v_mov_b32_e32 v124, v122
	;; [unrolled: 1-line block ×3, first 2 shown]
	v_pk_add_f32 v[52:53], v[202:203], v[52:53]
	v_pk_add_f32 v[102:103], v[124:125], v[102:103]
	ds_write2_b64 v50, v[52:53], v[102:103] offset0:36 offset1:45
	v_pk_mul_f32 v[52:53], v[232:233], s[24:25] op_sel_hi:[1,0]
	v_pk_mul_f32 v[124:125], v[154:155], s[34:35] op_sel_hi:[1,0]
	v_pk_fma_f32 v[102:103], v[44:45], s[22:23], v[52:53] op_sel_hi:[1,0,1] neg_lo:[0,0,1] neg_hi:[0,0,1]
	v_pk_fma_f32 v[44:45], v[44:45], s[22:23], v[52:53] op_sel_hi:[1,0,1]
	v_mov_b32_e32 v52, v102
	v_mov_b32_e32 v53, v45
	v_pk_fma_f32 v[126:127], v[42:43], s[30:31], v[124:125] op_sel_hi:[1,0,1] neg_lo:[0,0,1] neg_hi:[0,0,1]
	v_pk_fma_f32 v[42:43], v[42:43], s[30:31], v[124:125] op_sel_hi:[1,0,1]
	v_pk_add_f32 v[52:53], v[36:37], v[52:53]
	v_mov_b32_e32 v124, v126
	v_mov_b32_e32 v125, v43
	v_pk_add_f32 v[52:53], v[124:125], v[52:53]
	v_pk_mul_f32 v[124:125], v[156:157], s[36:37] op_sel_hi:[1,0]
	v_mov_b32_e32 v45, v103
	v_pk_fma_f32 v[128:129], v[40:41], s[20:21], v[124:125] op_sel_hi:[1,0,1] neg_lo:[0,0,1] neg_hi:[0,0,1]
	v_pk_fma_f32 v[40:41], v[40:41], s[20:21], v[124:125] op_sel_hi:[1,0,1]
	v_mov_b32_e32 v124, v128
	v_mov_b32_e32 v125, v41
	v_pk_add_f32 v[52:53], v[124:125], v[52:53]
	v_pk_mul_f32 v[124:125], v[158:159], s[42:43] op_sel_hi:[1,0]
	v_mov_b32_e32 v55, v101
	v_pk_fma_f32 v[130:131], v[38:39], s[16:17], v[124:125] op_sel_hi:[1,0,1] neg_lo:[0,0,1] neg_hi:[0,0,1]
	v_pk_fma_f32 v[38:39], v[38:39], s[16:17], v[124:125] op_sel_hi:[1,0,1]
	v_mov_b32_e32 v124, v130
	v_mov_b32_e32 v125, v39
	v_pk_add_f32 v[52:53], v[124:125], v[52:53]
	v_pk_mul_f32 v[124:125], v[174:175], s[14:15] op_sel_hi:[1,0]
	v_pk_add_f32 v[44:45], v[36:37], v[44:45]
	v_pk_fma_f32 v[132:133], v[46:47], s[2:3], v[124:125] op_sel_hi:[1,0,1] neg_lo:[0,0,1] neg_hi:[0,0,1]
	v_pk_fma_f32 v[46:47], v[46:47], s[2:3], v[124:125] op_sel_hi:[1,0,1]
	v_mov_b32_e32 v43, v127
	v_pk_add_f32 v[36:37], v[36:37], v[54:55]
	v_mov_b32_e32 v105, v107
	v_mov_b32_e32 v124, v132
	v_mov_b32_e32 v125, v47
	v_pk_add_f32 v[42:43], v[42:43], v[44:45]
	v_mov_b32_e32 v41, v129
	v_pk_add_f32 v[36:37], v[104:105], v[36:37]
	v_mov_b32_e32 v109, v111
	v_pk_add_f32 v[52:53], v[124:125], v[52:53]
	v_pk_mul_f32 v[124:125], v[186:187], s[28:29] op_sel_hi:[1,0]
	v_pk_add_f32 v[40:41], v[40:41], v[42:43]
	v_mov_b32_e32 v39, v131
	v_pk_add_f32 v[36:37], v[108:109], v[36:37]
	v_mov_b32_e32 v113, v115
	v_pk_fma_f32 v[134:135], v[48:49], s[26:27], v[124:125] op_sel_hi:[1,0,1] neg_lo:[0,0,1] neg_hi:[0,0,1]
	v_pk_fma_f32 v[48:49], v[48:49], s[26:27], v[124:125] op_sel_hi:[1,0,1]
	v_pk_add_f32 v[38:39], v[38:39], v[40:41]
	v_mov_b32_e32 v47, v133
	v_pk_add_f32 v[36:37], v[112:113], v[36:37]
	v_mov_b32_e32 v117, v119
	v_mov_b32_e32 v124, v134
	;; [unrolled: 1-line block ×3, first 2 shown]
	v_pk_add_f32 v[38:39], v[46:47], v[38:39]
	v_mov_b32_e32 v49, v135
	v_pk_add_f32 v[36:37], v[116:117], v[36:37]
	v_mov_b32_e32 v121, v123
	v_pk_add_f32 v[52:53], v[124:125], v[52:53]
	v_pk_add_f32 v[38:39], v[48:49], v[38:39]
	;; [unrolled: 1-line block ×3, first 2 shown]
	ds_write2_b64 v50, v[52:53], v[38:39] offset0:54 offset1:63
	ds_write2_b64 v50, v[36:37], v[62:63] offset0:72 offset1:81
	;; [unrolled: 1-line block ×3, first 2 shown]
	ds_write_b64 v50, v[98:99] offset:864
.LBB0_5:
	s_or_b64 exec, exec, s[38:39]
	v_lshlrev_b32_e32 v105, 4, v82
	s_mov_b32 s2, 0x8c09
	s_waitcnt lgkmcnt(0)
	s_barrier
	global_load_dwordx4 v[36:39], v105, s[10:11] offset:912
	v_mul_u32_u24_sdwa v40, v96, s2 dst_sel:DWORD dst_unused:UNUSED_PAD src0_sel:WORD_0 src1_sel:DWORD
	v_lshrrev_b32_e32 v40, 22, v40
	v_mul_lo_u16_e32 v40, 0x75, v40
	v_lshlrev_b32_e32 v50, 3, v82
	v_sub_u16_e32 v112, v96, v40
	v_lshl_add_u64 v[100:101], s[8:9], 0, v[50:51]
	v_lshlrev_b16_e32 v50, 4, v112
	v_lshl_add_u64 v[40:41], s[10:11], 0, v[50:51]
	global_load_dwordx4 v[40:43], v[40:41], off offset:912
	ds_read2_b64 v[44:47], v68 offset1:117
	v_add_u32_e32 v103, 0x400, v68
	v_add_u32_e32 v102, 0x1400, v68
	;; [unrolled: 1-line block ×3, first 2 shown]
	ds_read_b64 v[110:111], v68 offset:7488
	ds_read2_b64 v[48:51], v103 offset0:106 offset1:223
	ds_read2_b64 v[52:55], v102 offset0:62 offset1:179
	;; [unrolled: 1-line block ×3, first 2 shown]
	v_lshlrev_b32_e32 v114, 3, v112
	s_mov_b32 s8, 0x3f5db3d7
	s_waitcnt lgkmcnt(0)
	s_barrier
	v_add_u32_e32 v115, 0x1400, v114
	s_mov_b64 s[2:3], 0x20e8
	v_lshl_add_u64 v[124:125], v[100:101], 0, s[2:3]
	s_waitcnt vmcnt(1)
	v_pk_mul_f32 v[112:113], v[50:51], v[36:37] op_sel:[0,1]
	v_mov_b32_e32 v116, v39
	v_pk_mul_f32 v[118:119], v[106:107], v[36:37] op_sel:[0,1]
	v_pk_fma_f32 v[120:121], v[50:51], v[36:37], v[112:113] op_sel:[0,0,1] op_sel_hi:[1,1,0] neg_lo:[0,0,1] neg_hi:[0,0,1]
	v_pk_fma_f32 v[50:51], v[50:51], v[36:37], v[112:113] op_sel:[0,0,1] op_sel_hi:[1,0,0]
	v_pk_mul_f32 v[112:113], v[52:53], v[116:117] op_sel_hi:[1,0]
	v_pk_fma_f32 v[122:123], v[106:107], v[36:37], v[118:119] op_sel:[0,0,1] op_sel_hi:[1,1,0] neg_lo:[0,0,1] neg_hi:[0,0,1]
	v_pk_fma_f32 v[106:107], v[106:107], v[36:37], v[118:119] op_sel:[0,0,1] op_sel_hi:[1,0,0]
	v_pk_mul_f32 v[116:117], v[54:55], v[116:117] op_sel_hi:[1,0]
	v_mov_b32_e32 v121, v51
	v_pk_fma_f32 v[50:51], v[52:53], v[38:39], v[112:113] op_sel:[0,0,1] op_sel_hi:[1,1,0] neg_lo:[0,0,1] neg_hi:[0,0,1]
	v_pk_fma_f32 v[52:53], v[52:53], v[38:39], v[112:113] op_sel:[0,0,1] op_sel_hi:[1,0,0]
	v_mov_b32_e32 v123, v107
	v_pk_fma_f32 v[106:107], v[54:55], v[38:39], v[116:117] op_sel:[0,0,1] op_sel_hi:[1,1,0] neg_lo:[0,0,1] neg_hi:[0,0,1]
	v_pk_fma_f32 v[54:55], v[54:55], v[38:39], v[116:117] op_sel:[0,0,1] op_sel_hi:[1,0,0]
	v_mov_b32_e32 v51, v53
	v_pk_add_f32 v[52:53], v[44:45], v[120:121]
	v_mov_b32_e32 v107, v55
	v_pk_add_f32 v[52:53], v[52:53], v[50:51]
	v_pk_add_f32 v[112:113], v[120:121], v[50:51]
	v_pk_add_f32 v[50:51], v[120:121], v[50:51] neg_lo:[0,1] neg_hi:[0,1]
	v_pk_add_f32 v[54:55], v[46:47], v[122:123]
	v_pk_add_f32 v[116:117], v[122:123], v[106:107]
	v_pk_add_f32 v[118:119], v[122:123], v[106:107] neg_lo:[0,1] neg_hi:[0,1]
	v_pk_fma_f32 v[44:45], v[112:113], 0.5, v[44:45] op_sel_hi:[1,0,1] neg_lo:[1,0,0] neg_hi:[1,0,0]
	v_pk_mul_f32 v[50:51], v[50:51], s[8:9] op_sel_hi:[1,0]
	v_pk_add_f32 v[54:55], v[54:55], v[106:107]
	v_pk_fma_f32 v[46:47], v[116:117], 0.5, v[46:47] op_sel_hi:[1,0,1] neg_lo:[1,0,0] neg_hi:[1,0,0]
	v_pk_mul_f32 v[106:107], v[118:119], s[8:9] op_sel_hi:[1,0]
	v_pk_add_f32 v[112:113], v[44:45], v[50:51] op_sel:[0,1] op_sel_hi:[1,0]
	v_pk_add_f32 v[44:45], v[44:45], v[50:51] op_sel:[0,1] op_sel_hi:[1,0] neg_lo:[0,1] neg_hi:[0,1]
	s_waitcnt vmcnt(0)
	v_pk_mul_f32 v[50:51], v[108:109], v[40:41] op_sel:[0,1]
	v_mov_b32_e32 v116, v43
	v_pk_add_f32 v[118:119], v[46:47], v[106:107] op_sel:[0,1] op_sel_hi:[1,0] neg_lo:[0,1] neg_hi:[0,1]
	v_pk_add_f32 v[46:47], v[46:47], v[106:107] op_sel:[0,1] op_sel_hi:[1,0]
	v_pk_fma_f32 v[106:107], v[108:109], v[40:41], v[50:51] op_sel:[0,0,1] op_sel_hi:[1,1,0] neg_lo:[0,0,1] neg_hi:[0,0,1]
	v_pk_fma_f32 v[50:51], v[108:109], v[40:41], v[50:51] op_sel:[0,0,1] op_sel_hi:[1,0,0]
	v_pk_mul_f32 v[108:109], v[110:111], v[116:117] op_sel_hi:[1,0]
	v_mov_b32_e32 v116, v112
	v_mov_b32_e32 v117, v45
	;; [unrolled: 1-line block ×7, first 2 shown]
	v_pk_fma_f32 v[46:47], v[110:111], v[42:43], v[108:109] op_sel:[0,0,1] op_sel_hi:[1,1,0] neg_lo:[0,0,1] neg_hi:[0,0,1]
	v_pk_fma_f32 v[50:51], v[110:111], v[42:43], v[108:109] op_sel:[0,0,1] op_sel_hi:[1,0,0]
	ds_write2_b64 v68, v[52:53], v[116:117] offset1:117
	ds_write2_b64 v103, v[44:45], v[54:55] offset0:106 offset1:223
	ds_write2_b64 v104, v[112:113], v[118:119] offset0:84 offset1:201
	v_mov_b32_e32 v47, v51
	v_pk_add_f32 v[44:45], v[48:49], v[106:107]
	v_pk_add_f32 v[50:51], v[106:107], v[46:47]
	v_pk_add_f32 v[52:53], v[106:107], v[46:47] neg_lo:[0,1] neg_hi:[0,1]
	v_pk_add_f32 v[44:45], v[44:45], v[46:47]
	v_pk_fma_f32 v[46:47], v[50:51], 0.5, v[48:49] op_sel_hi:[1,0,1] neg_lo:[1,0,0] neg_hi:[1,0,0]
	v_pk_mul_f32 v[48:49], v[52:53], s[8:9] op_sel_hi:[1,0]
	s_movk_i32 s9, 0x2000
	v_pk_add_f32 v[50:51], v[46:47], v[48:49] op_sel:[0,1] op_sel_hi:[1,0] neg_lo:[0,1] neg_hi:[0,1]
	v_pk_add_f32 v[46:47], v[46:47], v[48:49] op_sel:[0,1] op_sel_hi:[1,0]
	v_mov_b32_e32 v49, v51
	v_mov_b32_e32 v48, v46
	;; [unrolled: 1-line block ×3, first 2 shown]
	ds_write2_b64 v115, v[44:45], v[48:49] offset0:62 offset1:179
	ds_write_b64 v114, v[50:51] offset:7488
	v_lshlrev_b32_e32 v44, 4, v94
	s_waitcnt lgkmcnt(0)
	s_barrier
	global_load_dwordx4 v[52:55], v105, s[10:11] offset:2784
	global_load_dwordx4 v[48:51], v44, s[10:11] offset:2784
	v_lshlrev_b32_e32 v44, 4, v96
	global_load_dwordx4 v[44:47], v44, s[10:11] offset:2784
	ds_read2_b64 v[106:109], v103 offset0:106 offset1:223
	ds_read2_b64 v[110:113], v68 offset1:117
	ds_read2_b64 v[116:119], v104 offset0:84 offset1:201
	ds_read2_b64 v[120:123], v102 offset0:62 offset1:179
	ds_read_b64 v[128:129], v68 offset:7488
	v_add_co_u32_e64 v126, s[2:3], s9, v100
	v_add_u32_e32 v105, 0x1800, v68
	s_nop 0
	v_addc_co_u32_e64 v127, s[2:3], 0, v101, s[2:3]
	s_movk_i32 s2, 0x3000
	s_nop 0
	v_add_co_u32_e64 v100, s[2:3], s2, v100
	s_waitcnt vmcnt(2) lgkmcnt(4)
	v_pk_mul_f32 v[130:131], v[108:109], v[52:53] op_sel:[0,1]
	v_mov_b32_e32 v94, v55
	s_waitcnt vmcnt(1) lgkmcnt(2)
	v_pk_mul_f32 v[132:133], v[116:117], v[48:49] op_sel:[0,1]
	v_mov_b32_e32 v96, v51
	s_waitcnt vmcnt(0)
	v_pk_mul_f32 v[134:135], v[118:119], v[44:45] op_sel:[0,1]
	v_mov_b32_e32 v136, v47
	v_pk_fma_f32 v[138:139], v[108:109], v[52:53], v[130:131] op_sel:[0,0,1] op_sel_hi:[1,1,0] neg_lo:[0,0,1] neg_hi:[0,0,1]
	v_pk_fma_f32 v[108:109], v[108:109], v[52:53], v[130:131] op_sel:[0,0,1] op_sel_hi:[1,0,0]
	s_waitcnt lgkmcnt(1)
	v_pk_mul_f32 v[130:131], v[120:121], v[94:95] op_sel_hi:[1,0]
	v_pk_fma_f32 v[140:141], v[116:117], v[48:49], v[132:133] op_sel:[0,0,1] op_sel_hi:[1,1,0] neg_lo:[0,0,1] neg_hi:[0,0,1]
	v_pk_fma_f32 v[116:117], v[116:117], v[48:49], v[132:133] op_sel:[0,0,1] op_sel_hi:[1,0,0]
	v_pk_mul_f32 v[132:133], v[122:123], v[96:97] op_sel_hi:[1,0]
	v_pk_fma_f32 v[142:143], v[118:119], v[44:45], v[134:135] op_sel:[0,0,1] op_sel_hi:[1,1,0] neg_lo:[0,0,1] neg_hi:[0,0,1]
	v_pk_fma_f32 v[118:119], v[118:119], v[44:45], v[134:135] op_sel:[0,0,1] op_sel_hi:[1,0,0]
	s_waitcnt lgkmcnt(0)
	v_pk_mul_f32 v[134:135], v[128:129], v[136:137] op_sel_hi:[1,0]
	v_mov_b32_e32 v139, v109
	v_pk_fma_f32 v[108:109], v[120:121], v[54:55], v[130:131] op_sel:[0,0,1] op_sel_hi:[1,1,0] neg_lo:[0,0,1] neg_hi:[0,0,1]
	v_pk_fma_f32 v[120:121], v[120:121], v[54:55], v[130:131] op_sel:[0,0,1] op_sel_hi:[1,0,0]
	v_mov_b32_e32 v141, v117
	v_pk_fma_f32 v[116:117], v[122:123], v[50:51], v[132:133] op_sel:[0,0,1] op_sel_hi:[1,1,0] neg_lo:[0,0,1] neg_hi:[0,0,1]
	v_pk_fma_f32 v[122:123], v[122:123], v[50:51], v[132:133] op_sel:[0,0,1] op_sel_hi:[1,0,0]
	;; [unrolled: 3-line block ×3, first 2 shown]
	v_mov_b32_e32 v109, v121
	v_pk_add_f32 v[120:121], v[110:111], v[138:139]
	v_mov_b32_e32 v117, v123
	v_pk_add_f32 v[122:123], v[112:113], v[140:141]
	;; [unrolled: 2-line block ×3, first 2 shown]
	v_pk_add_f32 v[120:121], v[120:121], v[108:109]
	v_pk_add_f32 v[122:123], v[122:123], v[116:117]
	;; [unrolled: 1-line block ×4, first 2 shown]
	v_pk_add_f32 v[108:109], v[138:139], v[108:109] neg_lo:[0,1] neg_hi:[0,1]
	v_pk_add_f32 v[132:133], v[140:141], v[116:117]
	v_pk_add_f32 v[116:117], v[140:141], v[116:117] neg_lo:[0,1] neg_hi:[0,1]
	v_pk_add_f32 v[134:135], v[142:143], v[118:119]
	v_pk_add_f32 v[118:119], v[142:143], v[118:119] neg_lo:[0,1] neg_hi:[0,1]
	v_pk_fma_f32 v[110:111], v[130:131], 0.5, v[110:111] op_sel_hi:[1,0,1] neg_lo:[1,0,0] neg_hi:[1,0,0]
	v_pk_mul_f32 v[108:109], v[108:109], s[8:9] op_sel_hi:[1,0]
	v_pk_fma_f32 v[112:113], v[132:133], 0.5, v[112:113] op_sel_hi:[1,0,1] neg_lo:[1,0,0] neg_hi:[1,0,0]
	v_pk_mul_f32 v[116:117], v[116:117], s[8:9] op_sel_hi:[1,0]
	;; [unrolled: 2-line block ×3, first 2 shown]
	v_pk_add_f32 v[130:131], v[110:111], v[108:109] op_sel:[0,1] op_sel_hi:[1,0]
	v_pk_add_f32 v[108:109], v[110:111], v[108:109] op_sel:[0,1] op_sel_hi:[1,0] neg_lo:[0,1] neg_hi:[0,1]
	v_pk_add_f32 v[110:111], v[112:113], v[116:117] op_sel:[0,1] op_sel_hi:[1,0]
	v_pk_add_f32 v[112:113], v[112:113], v[116:117] op_sel:[0,1] op_sel_hi:[1,0] neg_lo:[0,1] neg_hi:[0,1]
	;; [unrolled: 2-line block ×3, first 2 shown]
	v_mov_b32_e32 v118, v130
	v_mov_b32_e32 v119, v109
	;; [unrolled: 1-line block ×9, first 2 shown]
	ds_write_b64 v68, v[118:119] offset:2808
	ds_write_b64 v68, v[108:109] offset:5616
	ds_write2_b64 v68, v[120:121], v[122:123] offset1:117
	ds_write_b64 v68, v[128:129] offset:1872
	ds_write2_b64 v104, v[130:131], v[110:111] offset0:84 offset1:201
	ds_write2_b64 v105, v[112:113], v[106:107] offset0:51 offset1:168
	s_waitcnt lgkmcnt(0)
	s_barrier
	global_load_dwordx2 v[110:111], v[126:127], off offset:232
	global_load_dwordx2 v[112:113], v[124:125], off offset:936
	v_addc_co_u32_e64 v101, s[2:3], 0, v101, s[2:3]
	global_load_dwordx2 v[116:117], v[100:101], off offset:3624
	global_load_dwordx2 v[120:121], v[124:125], off offset:2808
	global_load_dwordx2 v[122:123], v[100:101], off offset:1752
	global_load_dwordx2 v[126:127], v[124:125], off offset:3744
	global_load_dwordx2 v[128:129], v[100:101], off offset:2688
	global_load_dwordx2 v[130:131], v[124:125], off offset:1872
	global_load_dwordx2 v[132:133], v[100:101], off offset:816
	ds_read2_b64 v[106:109], v68 offset1:117
	ds_read_b64 v[100:101], v68 offset:7488
	v_add_u32_e32 v94, 0x800, v68
	v_add_u32_e32 v96, 0x1000, v68
	s_waitcnt vmcnt(6) lgkmcnt(0)
	v_mul_f32_e32 v135, v100, v117
	v_fmac_f32_e32 v135, v101, v116
	v_mul_f32_e32 v115, v107, v111
	v_mul_f32_e32 v119, v106, v111
	v_fma_f32 v118, v106, v110, -v115
	v_fmac_f32_e32 v119, v107, v110
	v_mul_f32_e32 v111, v109, v113
	v_mul_f32_e32 v125, v108, v113
	;; [unrolled: 1-line block ×3, first 2 shown]
	ds_write_b64 v68, v[118:119]
	v_fma_f32 v124, v108, v112, -v111
	v_fmac_f32_e32 v125, v109, v112
	ds_read2_b64 v[106:109], v103 offset0:106 offset1:223
	v_fma_f32 v134, v100, v116, -v113
	ds_read2_b64 v[110:113], v102 offset0:62 offset1:179
	ds_read2_b64 v[116:119], v104 offset0:84 offset1:201
	s_waitcnt vmcnt(5) lgkmcnt(2)
	v_mul_f32_e32 v100, v109, v121
	v_mul_f32_e32 v101, v108, v121
	s_waitcnt vmcnt(4) lgkmcnt(1)
	v_mul_f32_e32 v115, v111, v123
	v_mul_f32_e32 v121, v110, v123
	;; [unrolled: 3-line block ×3, first 2 shown]
	s_waitcnt vmcnt(2)
	v_mul_f32_e32 v137, v113, v129
	v_mul_f32_e32 v127, v112, v129
	s_waitcnt vmcnt(1)
	v_mul_f32_e32 v138, v107, v131
	v_mul_f32_e32 v129, v106, v131
	;; [unrolled: 3-line block ×3, first 2 shown]
	v_fma_f32 v100, v108, v120, -v100
	v_fmac_f32_e32 v101, v109, v120
	v_fma_f32 v120, v110, v122, -v115
	v_fmac_f32_e32 v121, v111, v122
	v_fma_f32 v122, v116, v126, -v136
	v_fmac_f32_e32 v123, v117, v126
	v_fma_f32 v126, v112, v128, -v137
	v_fmac_f32_e32 v127, v113, v128
	v_fma_f32 v128, v106, v130, -v138
	v_fmac_f32_e32 v129, v107, v130
	v_fma_f32 v130, v118, v132, -v139
	v_fmac_f32_e32 v131, v119, v132
	ds_write2_b64 v94, v[100:101], v[122:123] offset0:95 offset1:212
	ds_write2_b64 v68, v[124:125], v[128:129] offset0:117 offset1:234
	;; [unrolled: 1-line block ×4, first 2 shown]
	s_waitcnt lgkmcnt(0)
	s_barrier
	ds_read2_b64 v[106:109], v68 offset1:117
	ds_read2_b64 v[110:113], v104 offset0:84 offset1:201
	ds_read2_b64 v[116:119], v102 offset0:62 offset1:179
	;; [unrolled: 1-line block ×3, first 2 shown]
	ds_read_b64 v[100:101], v68 offset:7488
	s_waitcnt lgkmcnt(0)
	v_pk_add_f32 v[124:125], v[108:109], v[110:111]
	v_pk_add_f32 v[126:127], v[110:111], v[118:119]
	v_pk_add_f32 v[110:111], v[110:111], v[118:119] neg_lo:[0,1] neg_hi:[0,1]
	v_pk_add_f32 v[130:131], v[106:107], v[122:123]
	v_pk_add_f32 v[132:133], v[122:123], v[116:117]
	v_pk_add_f32 v[122:123], v[122:123], v[116:117] neg_lo:[0,1] neg_hi:[0,1]
	v_pk_fma_f32 v[108:109], v[126:127], 0.5, v[108:109] op_sel_hi:[1,0,1] neg_lo:[1,0,0] neg_hi:[1,0,0]
	v_pk_mul_f32 v[110:111], v[110:111], s[8:9] op_sel_hi:[1,0]
	v_pk_fma_f32 v[106:107], v[132:133], 0.5, v[106:107] op_sel_hi:[1,0,1] neg_lo:[1,0,0] neg_hi:[1,0,0]
	v_pk_mul_f32 v[122:123], v[122:123], s[8:9] op_sel_hi:[1,0]
	v_pk_add_f32 v[126:127], v[108:109], v[110:111] op_sel:[0,1] op_sel_hi:[1,0] neg_lo:[0,1] neg_hi:[0,1]
	v_pk_add_f32 v[108:109], v[108:109], v[110:111] op_sel:[0,1] op_sel_hi:[1,0]
	v_pk_add_f32 v[110:111], v[106:107], v[122:123] op_sel:[0,1] op_sel_hi:[1,0] neg_lo:[0,1] neg_hi:[0,1]
	v_pk_add_f32 v[106:107], v[106:107], v[122:123] op_sel:[0,1] op_sel_hi:[1,0]
	v_pk_add_f32 v[128:129], v[120:121], v[112:113]
	v_pk_add_f32 v[116:117], v[130:131], v[116:117]
	v_mov_b32_e32 v122, v110
	v_mov_b32_e32 v123, v107
	;; [unrolled: 1-line block ×3, first 2 shown]
	s_barrier
	v_pk_add_f32 v[118:119], v[124:125], v[118:119]
	v_pk_add_f32 v[124:125], v[128:129], v[100:101]
	v_mov_b32_e32 v110, v126
	v_mov_b32_e32 v111, v109
	ds_write2_b64 v79, v[116:117], v[122:123] offset1:1
	ds_write_b64 v79, v[106:107] offset:16
	ds_write2_b64 v69, v[118:119], v[110:111] offset1:1
	v_pk_add_f32 v[106:107], v[112:113], v[100:101]
	v_pk_add_f32 v[100:101], v[112:113], v[100:101] neg_lo:[0,1] neg_hi:[0,1]
	v_mov_b32_e32 v109, v127
	v_pk_fma_f32 v[106:107], v[106:107], 0.5, v[120:121] op_sel_hi:[1,0,1] neg_lo:[1,0,0] neg_hi:[1,0,0]
	v_pk_mul_f32 v[100:101], v[100:101], s[8:9] op_sel_hi:[1,0]
	ds_write_b64 v69, v[108:109] offset:16
	v_pk_add_f32 v[108:109], v[106:107], v[100:101] op_sel:[0,1] op_sel_hi:[1,0] neg_lo:[0,1] neg_hi:[0,1]
	v_pk_add_f32 v[100:101], v[106:107], v[100:101] op_sel:[0,1] op_sel_hi:[1,0]
	v_mov_b32_e32 v106, v108
	v_mov_b32_e32 v107, v101
	;; [unrolled: 1-line block ×3, first 2 shown]
	ds_write2_b64 v83, v[124:125], v[106:107] offset1:1
	ds_write_b64 v83, v[100:101] offset:16
	s_waitcnt lgkmcnt(0)
	s_barrier
	ds_read2_b64 v[106:109], v103 offset0:106 offset1:223
	ds_read2_b64 v[110:113], v104 offset0:84 offset1:201
	;; [unrolled: 1-line block ×3, first 2 shown]
	ds_read2_b64 v[116:119], v68 offset1:117
	s_waitcnt lgkmcnt(3)
	v_pk_mul_f32 v[4:5], v[4:5], v[108:109]
	s_nop 0
	v_pk_fma_f32 v[104:105], v[92:93], v[108:109], v[4:5] op_sel:[0,0,1] op_sel_hi:[1,1,0]
	v_pk_fma_f32 v[4:5], v[92:93], v[108:109], v[4:5] op_sel:[0,0,1] op_sel_hi:[1,1,0] neg_lo:[0,0,1] neg_hi:[0,0,1]
	s_waitcnt lgkmcnt(2)
	v_pk_mul_f32 v[92:93], v[0:1], v[110:111] op_sel_hi:[1,0]
	v_mov_b32_e32 v105, v5
	s_waitcnt lgkmcnt(1)
	v_pk_mul_f32 v[4:5], v[64:65], v[100:101]
	v_pk_mul_f32 v[8:9], v[8:9], v[112:113]
	v_pk_fma_f32 v[64:65], v[6:7], v[100:101], v[4:5] op_sel:[0,0,1] op_sel_hi:[1,1,0]
	v_pk_fma_f32 v[4:5], v[6:7], v[100:101], v[4:5] op_sel:[0,0,1] op_sel_hi:[1,1,0] neg_lo:[0,0,1] neg_hi:[0,0,1]
	s_nop 0
	v_mov_b32_e32 v65, v5
	s_waitcnt lgkmcnt(0)
	v_pk_add_f32 v[4:5], v[116:117], v[104:105]
	v_pk_add_f32 v[6:7], v[104:105], v[64:65]
	;; [unrolled: 1-line block ×3, first 2 shown]
	v_pk_add_f32 v[64:65], v[104:105], v[64:65] neg_lo:[0,1] neg_hi:[0,1]
	v_pk_fma_f32 v[6:7], v[6:7], 0.5, v[116:117] op_sel_hi:[1,0,1] neg_lo:[1,0,0] neg_hi:[1,0,0]
	v_pk_mul_f32 v[64:65], v[64:65], s[8:9] op_sel_hi:[1,0]
	s_nop 0
	v_pk_add_f32 v[108:109], v[64:65], v[6:7] op_sel:[1,0] op_sel_hi:[0,1]
	v_pk_add_f32 v[6:7], v[6:7], v[64:65] op_sel:[0,1] op_sel_hi:[1,0] neg_lo:[0,1] neg_hi:[0,1]
	v_mov_b32_e32 v64, v111
	v_pk_fma_f32 v[64:65], v[0:1], v[64:65], v[92:93] op_sel:[0,0,1] op_sel_hi:[1,1,0] neg_lo:[0,0,1] neg_hi:[0,0,1]
	v_pk_fma_f32 v[0:1], v[0:1], v[110:111], v[92:93] op_sel:[0,1,1] op_sel_hi:[1,1,0]
	v_pk_mul_f32 v[92:93], v[2:3], v[102:103] op_sel_hi:[1,0]
	v_mov_b32_e32 v0, v103
	v_pk_fma_f32 v[100:101], v[2:3], v[0:1], v[92:93] op_sel:[0,0,1] op_sel_hi:[1,1,0] neg_lo:[0,0,1] neg_hi:[0,0,1]
	v_pk_fma_f32 v[2:3], v[2:3], v[102:103], v[92:93] op_sel:[0,1,1] op_sel_hi:[1,1,0]
	v_mov_b32_e32 v65, v1
	v_mov_b32_e32 v101, v3
	;; [unrolled: 1-line block ×6, first 2 shown]
	v_pk_add_f32 v[92:93], v[0:1], v[2:3]
	v_pk_add_f32 v[0:1], v[118:119], v[0:1]
	v_pk_fma_f32 v[92:93], v[92:93], 0.5, v[118:119] op_sel_hi:[1,0,1] neg_lo:[1,0,0] neg_hi:[1,0,0]
	v_pk_add_f32 v[2:3], v[0:1], v[2:3]
	ds_read_b64 v[0:1], v68 offset:7488
	v_pk_add_f32 v[64:65], v[64:65], v[100:101] neg_lo:[0,1] neg_hi:[0,1]
	s_waitcnt lgkmcnt(0)
	v_pk_fma_f32 v[110:111], v[64:65], s[8:9], v[92:93] op_sel_hi:[1,0,1]
	v_pk_fma_f32 v[64:65], v[64:65], s[8:9], v[92:93] op_sel_hi:[1,0,1] neg_lo:[1,0,0] neg_hi:[1,0,0]
	v_pk_mul_f32 v[10:11], v[10:11], v[0:1]
	v_pk_fma_f32 v[92:93], v[60:61], v[112:113], v[8:9] op_sel:[0,0,1] op_sel_hi:[1,1,0]
	v_pk_fma_f32 v[8:9], v[60:61], v[112:113], v[8:9] op_sel:[0,0,1] op_sel_hi:[1,1,0] neg_lo:[1,0,0] neg_hi:[1,0,0]
	v_pk_fma_f32 v[60:61], v[66:67], v[0:1], v[10:11] op_sel:[0,0,1] op_sel_hi:[1,1,0]
	v_pk_fma_f32 v[0:1], v[66:67], v[0:1], v[10:11] op_sel:[0,0,1] op_sel_hi:[1,1,0] neg_lo:[1,0,0] neg_hi:[1,0,0]
	v_mov_b32_e32 v10, v93
	v_mov_b32_e32 v1, v61
	;; [unrolled: 1-line block ×6, first 2 shown]
	v_pk_add_f32 v[66:67], v[10:11], v[60:61]
	v_pk_add_f32 v[0:1], v[8:9], v[0:1] neg_lo:[0,1] neg_hi:[0,1]
	v_pk_fma_f32 v[66:67], v[66:67], 0.5, v[106:107] op_sel_hi:[1,0,1] neg_lo:[1,0,0] neg_hi:[1,0,0]
	v_pk_add_f32 v[8:9], v[106:107], v[10:11]
	v_pk_fma_f32 v[112:113], v[0:1], s[8:9], v[66:67] op_sel_hi:[1,0,1]
	v_pk_fma_f32 v[10:11], v[0:1], s[8:9], v[66:67] op_sel_hi:[1,0,1] neg_lo:[1,0,0] neg_hi:[1,0,0]
	v_mov_b32_e32 v0, v6
	v_mov_b32_e32 v1, v109
	s_barrier
	ds_write2_b64 v95, v[4:5], v[0:1] offset1:3
	v_mov_b32_e32 v0, v108
	v_mov_b32_e32 v1, v7
	ds_write_b64 v95, v[0:1] offset:48
	v_mov_b32_e32 v0, v64
	v_mov_b32_e32 v1, v111
	ds_write2_b64 v97, v[2:3], v[0:1] offset1:3
	v_mov_b32_e32 v0, v110
	v_mov_b32_e32 v1, v65
	v_pk_add_f32 v[8:9], v[8:9], v[60:61]
	ds_write_b64 v97, v[0:1] offset:48
	v_mov_b32_e32 v0, v10
	v_mov_b32_e32 v1, v113
	ds_write2_b64 v230, v[8:9], v[0:1] offset1:3
	v_mov_b32_e32 v0, v112
	v_mov_b32_e32 v1, v11
	ds_write_b64 v230, v[0:1] offset:48
	s_waitcnt lgkmcnt(0)
	s_barrier
	s_and_saveexec_b64 s[2:3], s[0:1]
	s_xor_b64 s[0:1], exec, s[2:3]
	s_andn2_saveexec_b64 s[0:1], s[0:1]
	s_cbranch_execz .LBB0_7
; %bb.6:
	v_add_u32_e32 v8, 0x800, v68
	ds_read2_b64 v[4:7], v68 offset1:81
	ds_read2_b64 v[0:3], v68 offset0:162 offset1:243
	ds_read2_b64 v[64:67], v8 offset0:68 offset1:149
	v_add_u32_e32 v8, 0xc00, v68
	v_add_u32_e32 v9, 0x1000, v68
	ds_read2_b64 v[60:63], v9 offset0:136 offset1:217
	ds_read2_b64 v[8:11], v8 offset0:102 offset1:183
	v_add_u32_e32 v56, 0x1800, v68
	ds_read2_b64 v[56:59], v56 offset0:42 offset1:123
	ds_read_b64 v[98:99], v68 offset:7776
	s_waitcnt lgkmcnt(4)
	v_mov_b32_e32 v110, v66
	s_waitcnt lgkmcnt(3)
	v_mov_b32_e32 v112, v60
	;; [unrolled: 2-line block ×3, first 2 shown]
	v_mov_b32_e32 v111, v65
	v_mov_b32_e32 v108, v0
	;; [unrolled: 1-line block ×6, first 2 shown]
.LBB0_7:
	s_or_b64 exec, exec, s[0:1]
	v_mov_b32_e32 v102, v36
	v_mov_b32_e32 v103, v36
	v_mov_b32_e32 v36, v37
	v_mov_b32_e32 v100, v38
	v_mov_b32_e32 v101, v38
	v_mov_b32_e32 v38, v39
	v_mov_b32_e32 v106, v40
	v_mov_b32_e32 v107, v40
	v_mov_b32_e32 v40, v41
	v_mov_b32_e32 v104, v42
	v_mov_b32_e32 v105, v42
	v_mov_b32_e32 v42, v43
	v_mov_b32_e32 v96, v52
	v_mov_b32_e32 v97, v52
	v_mov_b32_e32 v52, v53
	v_mov_b32_e32 v94, v54
	v_mov_b32_e32 v95, v54
	v_mov_b32_e32 v54, v55
	v_mov_b32_e32 v92, v48
	v_mov_b32_e32 v93, v48
	v_mov_b32_e32 v48, v49
	v_mov_b32_e32 v66, v50
	v_mov_b32_e32 v67, v50
	v_mov_b32_e32 v50, v51
	v_mov_b32_e32 v60, v44
	v_mov_b32_e32 v61, v44
	v_mov_b32_e32 v44, v45
	v_mov_b32_e32 v0, v46
	v_mov_b32_e32 v1, v46
	v_mov_b32_e32 v46, v47
	s_waitcnt lgkmcnt(0)
	s_barrier
	s_and_saveexec_b64 s[0:1], vcc
	s_cbranch_execz .LBB0_9
; %bb.8:
	v_pk_mul_f32 v[116:117], v[30:31], v[98:99] op_sel:[0,1]
	v_pk_mul_f32 v[120:121], v[28:29], v[58:59] op_sel:[0,1]
	v_pk_fma_f32 v[136:137], v[30:31], v[98:99], v[116:117] op_sel:[0,0,1] op_sel_hi:[1,1,0]
	v_pk_fma_f32 v[30:31], v[30:31], v[98:99], v[116:117] op_sel:[0,0,1] op_sel_hi:[1,0,0] neg_lo:[1,0,0] neg_hi:[1,0,0]
	v_pk_mul_f32 v[122:123], v[18:19], v[56:57] op_sel:[0,1]
	v_pk_mul_f32 v[126:127], v[16:17], v[62:63] op_sel:[0,1]
	v_pk_mul_f32 v[128:129], v[22:23], v[64:65] op_sel_hi:[1,0]
	v_pk_mul_f32 v[64:65], v[12:13], v[64:65] op_sel:[0,1]
	v_mov_b32_e32 v137, v31
	v_pk_fma_f32 v[30:31], v[28:29], v[58:59], v[120:121] op_sel:[0,0,1] op_sel_hi:[1,1,0]
	v_pk_fma_f32 v[28:29], v[28:29], v[58:59], v[120:121] op_sel:[0,0,1] op_sel_hi:[1,0,0] neg_lo:[1,0,0] neg_hi:[1,0,0]
	v_pk_mul_f32 v[130:131], v[34:35], v[10:11] op_sel:[0,1]
	v_pk_mul_f32 v[134:135], v[14:15], v[8:9] op_sel:[0,1]
	v_mov_b32_e32 v31, v29
	v_pk_fma_f32 v[28:29], v[18:19], v[56:57], v[122:123] op_sel:[0,0,1] op_sel_hi:[1,1,0]
	v_pk_fma_f32 v[18:19], v[18:19], v[56:57], v[122:123] op_sel:[0,0,1] op_sel_hi:[1,0,0] neg_lo:[1,0,0] neg_hi:[1,0,0]
	v_pk_fma_f32 v[116:117], v[16:17], v[62:63], v[126:127] op_sel:[0,0,1] op_sel_hi:[1,1,0]
	v_pk_fma_f32 v[16:17], v[16:17], v[62:63], v[126:127] op_sel:[0,0,1] op_sel_hi:[1,0,0] neg_lo:[1,0,0] neg_hi:[1,0,0]
	;; [unrolled: 2-line block ×3, first 2 shown]
	v_pk_mul_f32 v[132:133], v[32:33], v[112:113] op_sel:[0,1]
	v_mov_b32_e32 v29, v19
	v_pk_fma_f32 v[58:59], v[22:23], v[110:111], v[128:129] op_sel:[1,1,0] op_sel_hi:[0,1,1]
	v_pk_fma_f32 v[18:19], v[22:23], v[110:111], v[128:129] op_sel:[1,1,0] op_sel_hi:[0,1,1] neg_lo:[0,0,1] neg_hi:[0,0,1]
	v_mov_b32_e32 v63, v13
	v_pk_fma_f32 v[110:111], v[34:35], v[112:113], v[130:131] op_sel:[0,0,1] op_sel_hi:[1,1,0]
	v_pk_fma_f32 v[12:13], v[34:35], v[112:113], v[130:131] op_sel:[0,0,1] op_sel_hi:[1,0,0] neg_lo:[1,0,0] neg_hi:[1,0,0]
	v_pk_fma_f32 v[34:35], v[14:15], v[8:9], v[134:135] op_sel:[0,0,1] op_sel_hi:[1,1,0]
	v_pk_fma_f32 v[8:9], v[14:15], v[8:9], v[134:135] op_sel:[0,0,1] op_sel_hi:[1,0,0] neg_lo:[1,0,0] neg_hi:[1,0,0]
	v_pk_mul_f32 v[118:119], v[24:25], v[6:7] op_sel_hi:[1,0]
	v_mov_b32_e32 v35, v9
	v_pk_fma_f32 v[112:113], v[32:33], v[10:11], v[132:133] op_sel:[0,0,1] op_sel_hi:[1,1,0]
	v_pk_fma_f32 v[8:9], v[32:33], v[10:11], v[132:133] op_sel:[0,0,1] op_sel_hi:[1,0,0] neg_lo:[1,0,0] neg_hi:[1,0,0]
	v_pk_fma_f32 v[10:11], v[24:25], v[108:109], v[118:119] op_sel:[1,1,0] op_sel_hi:[0,1,1] neg_lo:[0,0,1] neg_hi:[0,0,1]
	v_mov_b32_e32 v113, v9
	v_pk_fma_f32 v[8:9], v[24:25], v[108:109], v[118:119] op_sel:[1,1,0] op_sel_hi:[0,1,1]
	v_pk_mul_f32 v[6:7], v[26:27], v[6:7] op_sel:[0,1]
	v_pk_mul_f32 v[124:125], v[20:21], v[2:3] op_sel:[0,1]
	v_mov_b32_e32 v9, v11
	v_pk_fma_f32 v[32:33], v[26:27], v[108:109], v[6:7] op_sel:[0,0,1] op_sel_hi:[1,1,0]
	v_pk_fma_f32 v[6:7], v[26:27], v[108:109], v[6:7] op_sel:[0,0,1] op_sel_hi:[1,0,0] neg_lo:[1,0,0] neg_hi:[1,0,0]
	v_pk_fma_f32 v[118:119], v[20:21], v[2:3], v[124:125] op_sel:[0,0,1] op_sel_hi:[1,1,0]
	v_pk_fma_f32 v[2:3], v[20:21], v[2:3], v[124:125] op_sel:[0,0,1] op_sel_hi:[1,0,0] neg_lo:[1,0,0] neg_hi:[1,0,0]
	v_pk_add_f32 v[124:125], v[8:9], v[136:137] neg_lo:[0,1] neg_hi:[0,1]
	s_mov_b32 s2, 0xbeedf032
	v_mov_b32_e32 v33, v7
	v_pk_add_f32 v[122:123], v[136:137], v[8:9]
	s_mov_b32 s10, 0x3f62ad3f
	v_pk_mul_f32 v[6:7], v[124:125], s[2:3] op_sel_hi:[1,0]
	v_mov_b32_e32 v119, v3
	v_pk_add_f32 v[128:129], v[32:33], v[30:31] neg_lo:[0,1] neg_hi:[0,1]
	v_pk_fma_f32 v[2:3], v[122:123], s[10:11], v[6:7] op_sel:[0,0,1] op_sel_hi:[1,0,0]
	v_pk_fma_f32 v[6:7], v[122:123], s[10:11], v[6:7] op_sel:[0,0,1] op_sel_hi:[1,0,0] neg_lo:[0,0,1] neg_hi:[0,0,1]
	s_mov_b32 s22, 0xbf52af12
	v_pk_add_f32 v[120:121], v[8:9], v[4:5]
	v_pk_add_f32 v[126:127], v[30:31], v[32:33]
	v_mov_b32_e32 v8, v2
	v_mov_b32_e32 v9, v7
	s_mov_b32 s8, 0x3f116cb1
	v_pk_mul_f32 v[10:11], v[128:129], s[22:23] op_sel_hi:[1,0]
	v_mov_b32_e32 v111, v13
	v_pk_add_f32 v[12:13], v[4:5], v[8:9]
	v_pk_fma_f32 v[8:9], v[126:127], s[8:9], v[10:11] op_sel:[0,0,1] op_sel_hi:[1,0,0]
	v_pk_fma_f32 v[10:11], v[126:127], s[8:9], v[10:11] op_sel:[0,0,1] op_sel_hi:[1,0,0] neg_lo:[0,0,1] neg_hi:[0,0,1]
	v_pk_add_f32 v[132:133], v[118:119], v[28:29] neg_lo:[0,1] neg_hi:[0,1]
	v_mov_b32_e32 v14, v8
	v_mov_b32_e32 v15, v11
	s_mov_b32 s30, 0xbf7e222b
	v_mov_b32_e32 v117, v17
	v_pk_add_f32 v[130:131], v[28:29], v[118:119]
	v_pk_add_f32 v[16:17], v[14:15], v[12:13]
	s_mov_b32 s2, 0x3df6dbef
	v_pk_mul_f32 v[14:15], v[132:133], s[30:31] op_sel_hi:[1,0]
	v_mov_b32_e32 v59, v19
	v_pk_fma_f32 v[12:13], v[130:131], s[2:3], v[14:15] op_sel:[0,0,1] op_sel_hi:[1,0,0]
	v_pk_fma_f32 v[14:15], v[130:131], s[2:3], v[14:15] op_sel:[0,0,1] op_sel_hi:[1,0,0] neg_lo:[0,0,1] neg_hi:[0,0,1]
	v_pk_add_f32 v[138:139], v[58:59], v[116:117] neg_lo:[0,1] neg_hi:[0,1]
	v_mov_b32_e32 v18, v12
	v_mov_b32_e32 v19, v15
	s_mov_b32 s16, 0xbf6f5d39
	v_pk_add_f32 v[32:33], v[32:33], v[120:121]
	v_pk_add_f32 v[134:135], v[116:117], v[58:59]
	v_pk_add_f32 v[20:21], v[18:19], v[16:17]
	s_mov_b32 s14, 0xbeb58ec6
	v_pk_mul_f32 v[18:19], v[138:139], s[16:17] op_sel_hi:[1,0]
	v_pk_add_f32 v[32:33], v[118:119], v[32:33]
	v_pk_fma_f32 v[16:17], v[134:135], s[14:15], v[18:19] op_sel:[0,0,1] op_sel_hi:[1,0,0]
	v_pk_fma_f32 v[18:19], v[134:135], s[14:15], v[18:19] op_sel:[0,0,1] op_sel_hi:[1,0,0] neg_lo:[0,0,1] neg_hi:[0,0,1]
	v_pk_add_f32 v[32:33], v[58:59], v[32:33]
	v_pk_add_f32 v[108:109], v[62:63], v[110:111] neg_lo:[0,1] neg_hi:[0,1]
	v_mov_b32_e32 v22, v16
	v_mov_b32_e32 v23, v19
	s_mov_b32 s20, 0xbf29c268
	v_pk_add_f32 v[32:33], v[62:63], v[32:33]
	v_pk_add_f32 v[98:99], v[110:111], v[62:63]
	v_pk_add_f32 v[24:25], v[22:23], v[20:21]
	s_mov_b32 s18, 0xbf3f9e67
	v_pk_mul_f32 v[22:23], v[108:109], s[20:21] op_sel_hi:[1,0]
	v_pk_add_f32 v[32:33], v[34:35], v[32:33]
	v_pk_fma_f32 v[20:21], v[98:99], s[18:19], v[22:23] op_sel:[0,0,1] op_sel_hi:[1,0,0]
	v_pk_fma_f32 v[22:23], v[98:99], s[18:19], v[22:23] op_sel:[0,0,1] op_sel_hi:[1,0,0] neg_lo:[0,0,1] neg_hi:[0,0,1]
	v_pk_add_f32 v[32:33], v[112:113], v[32:33]
	;; [unrolled: 13-line block ×3, first 2 shown]
	v_mul_u32_u24_e32 v69, 0x75, v228
	v_mov_b32_e32 v142, v24
	v_mov_b32_e32 v143, v27
	v_pk_add_f32 v[28:29], v[30:31], v[28:29]
	v_add_lshl_u32 v69, v69, v229, 3
	v_pk_add_f32 v[140:141], v[142:143], v[140:141]
	v_pk_add_f32 v[28:29], v[136:137], v[28:29]
	v_pk_mul_f32 v[30:31], v[124:125], s[22:23] op_sel_hi:[1,0]
	ds_write2_b64 v69, v[28:29], v[140:141] offset1:9
	v_pk_fma_f32 v[28:29], v[122:123], s[8:9], v[30:31] op_sel:[0,0,1] op_sel_hi:[1,0,0]
	v_pk_fma_f32 v[30:31], v[122:123], s[8:9], v[30:31] op_sel:[0,0,1] op_sel_hi:[1,0,0] neg_lo:[0,0,1] neg_hi:[0,0,1]
	v_mov_b32_e32 v32, v28
	v_mov_b32_e32 v33, v31
	v_pk_mul_f32 v[34:35], v[128:129], s[16:17] op_sel_hi:[1,0]
	v_pk_add_f32 v[58:59], v[4:5], v[32:33]
	v_pk_fma_f32 v[32:33], v[126:127], s[14:15], v[34:35] op_sel:[0,0,1] op_sel_hi:[1,0,0]
	v_pk_fma_f32 v[34:35], v[126:127], s[14:15], v[34:35] op_sel:[0,0,1] op_sel_hi:[1,0,0] neg_lo:[0,0,1] neg_hi:[0,0,1]
	v_mov_b32_e32 v62, v32
	v_mov_b32_e32 v63, v35
	v_pk_add_f32 v[110:111], v[62:63], v[58:59]
	v_pk_mul_f32 v[62:63], v[132:133], s[26:27] op_sel_hi:[1,0]
	s_mov_b32 s36, 0x3f29c268
	v_pk_fma_f32 v[58:59], v[130:131], s[24:25], v[62:63] op_sel:[0,0,1] op_sel_hi:[1,0,0]
	v_pk_fma_f32 v[62:63], v[130:131], s[24:25], v[62:63] op_sel:[0,0,1] op_sel_hi:[1,0,0] neg_lo:[0,0,1] neg_hi:[0,0,1]
	v_mov_b32_e32 v112, v58
	v_mov_b32_e32 v113, v63
	v_pk_add_f32 v[116:117], v[112:113], v[110:111]
	v_pk_mul_f32 v[112:113], v[138:139], s[36:37] op_sel_hi:[1,0]
	v_pk_mul_f32 v[148:149], v[128:129], s[26:27] op_sel_hi:[1,0]
	v_pk_fma_f32 v[110:111], v[134:135], s[18:19], v[112:113] op_sel:[0,0,1] op_sel_hi:[1,0,0]
	v_pk_fma_f32 v[112:113], v[134:135], s[18:19], v[112:113] op_sel:[0,0,1] op_sel_hi:[1,0,0] neg_lo:[0,0,1] neg_hi:[0,0,1]
	v_mov_b32_e32 v118, v110
	v_mov_b32_e32 v119, v113
	v_pk_add_f32 v[116:117], v[118:119], v[116:117]
	v_pk_mul_f32 v[118:119], v[108:109], s[28:29] op_sel_hi:[1,0]
	v_pk_fma_f32 v[150:151], v[126:127], s[24:25], v[148:149] op_sel:[0,0,1] op_sel_hi:[1,0,0]
	v_pk_fma_f32 v[120:121], v[98:99], s[2:3], v[118:119] op_sel:[0,0,1] op_sel_hi:[1,0,0]
	v_pk_fma_f32 v[118:119], v[98:99], s[2:3], v[118:119] op_sel:[0,0,1] op_sel_hi:[1,0,0] neg_lo:[0,0,1] neg_hi:[0,0,1]
	v_mov_b32_e32 v136, v120
	v_mov_b32_e32 v137, v119
	v_pk_add_f32 v[116:117], v[136:137], v[116:117]
	v_pk_mul_f32 v[136:137], v[64:65], s[34:35] op_sel_hi:[1,0]
	v_pk_fma_f32 v[148:149], v[126:127], s[24:25], v[148:149] op_sel:[0,0,1] op_sel_hi:[1,0,0] neg_lo:[0,0,1] neg_hi:[0,0,1]
	v_pk_fma_f32 v[140:141], v[56:57], s[10:11], v[136:137] op_sel:[0,0,1] op_sel_hi:[1,0,0]
	v_pk_fma_f32 v[136:137], v[56:57], s[10:11], v[136:137] op_sel:[0,0,1] op_sel_hi:[1,0,0] neg_lo:[0,0,1] neg_hi:[0,0,1]
	v_mov_b32_e32 v142, v140
	v_mov_b32_e32 v143, v137
	v_pk_add_f32 v[116:117], v[142:143], v[116:117]
	v_pk_mul_f32 v[142:143], v[124:125], s[30:31] op_sel_hi:[1,0]
	v_mov_b32_e32 v152, v150
	v_pk_fma_f32 v[144:145], v[122:123], s[2:3], v[142:143] op_sel:[0,0,1] op_sel_hi:[1,0,0]
	v_pk_fma_f32 v[142:143], v[122:123], s[2:3], v[142:143] op_sel:[0,0,1] op_sel_hi:[1,0,0] neg_lo:[0,0,1] neg_hi:[0,0,1]
	v_mov_b32_e32 v146, v144
	v_mov_b32_e32 v147, v143
	v_pk_add_f32 v[146:147], v[4:5], v[146:147]
	v_mov_b32_e32 v153, v149
	s_mov_b32 s38, 0x3f6f5d39
	v_pk_add_f32 v[146:147], v[152:153], v[146:147]
	v_pk_mul_f32 v[152:153], v[132:133], s[38:39] op_sel_hi:[1,0]
	v_pk_mul_f32 v[170:171], v[128:129], s[36:37] op_sel_hi:[1,0]
	v_pk_fma_f32 v[154:155], v[130:131], s[14:15], v[152:153] op_sel:[0,0,1] op_sel_hi:[1,0,0]
	v_pk_fma_f32 v[152:153], v[130:131], s[14:15], v[152:153] op_sel:[0,0,1] op_sel_hi:[1,0,0] neg_lo:[0,0,1] neg_hi:[0,0,1]
	v_mov_b32_e32 v156, v154
	v_mov_b32_e32 v157, v153
	v_pk_add_f32 v[146:147], v[156:157], v[146:147]
	v_pk_mul_f32 v[156:157], v[138:139], s[34:35] op_sel_hi:[1,0]
	v_pk_fma_f32 v[172:173], v[126:127], s[18:19], v[170:171] op_sel:[0,0,1] op_sel_hi:[1,0,0]
	v_pk_fma_f32 v[158:159], v[134:135], s[10:11], v[156:157] op_sel:[0,0,1] op_sel_hi:[1,0,0]
	v_pk_fma_f32 v[156:157], v[134:135], s[10:11], v[156:157] op_sel:[0,0,1] op_sel_hi:[1,0,0] neg_lo:[0,0,1] neg_hi:[0,0,1]
	v_mov_b32_e32 v160, v158
	v_mov_b32_e32 v161, v157
	v_pk_add_f32 v[146:147], v[160:161], v[146:147]
	v_pk_mul_f32 v[160:161], v[108:109], s[22:23] op_sel_hi:[1,0]
	v_pk_fma_f32 v[170:171], v[126:127], s[18:19], v[170:171] op_sel:[0,0,1] op_sel_hi:[1,0,0] neg_lo:[0,0,1] neg_hi:[0,0,1]
	v_pk_fma_f32 v[162:163], v[98:99], s[8:9], v[160:161] op_sel:[0,0,1] op_sel_hi:[1,0,0]
	v_pk_fma_f32 v[160:161], v[98:99], s[8:9], v[160:161] op_sel:[0,0,1] op_sel_hi:[1,0,0] neg_lo:[0,0,1] neg_hi:[0,0,1]
	v_mov_b32_e32 v164, v162
	v_mov_b32_e32 v165, v161
	v_pk_add_f32 v[146:147], v[164:165], v[146:147]
	v_pk_mul_f32 v[164:165], v[64:65], s[20:21] op_sel_hi:[1,0]
	v_mov_b32_e32 v174, v172
	v_pk_fma_f32 v[166:167], v[56:57], s[18:19], v[164:165] op_sel:[0,0,1] op_sel_hi:[1,0,0]
	v_pk_fma_f32 v[164:165], v[56:57], s[18:19], v[164:165] op_sel:[0,0,1] op_sel_hi:[1,0,0] neg_lo:[0,0,1] neg_hi:[0,0,1]
	v_mov_b32_e32 v168, v166
	v_mov_b32_e32 v169, v165
	v_pk_add_f32 v[146:147], v[168:169], v[146:147]
	ds_write2_b64 v69, v[116:117], v[146:147] offset0:18 offset1:27
	v_pk_mul_f32 v[116:117], v[124:125], s[16:17] op_sel_hi:[1,0]
	v_mov_b32_e32 v175, v171
	v_pk_fma_f32 v[146:147], v[122:123], s[14:15], v[116:117] op_sel:[0,0,1] op_sel_hi:[1,0,0]
	v_pk_fma_f32 v[116:117], v[122:123], s[14:15], v[116:117] op_sel:[0,0,1] op_sel_hi:[1,0,0] neg_lo:[0,0,1] neg_hi:[0,0,1]
	v_mov_b32_e32 v168, v146
	v_mov_b32_e32 v169, v117
	v_pk_add_f32 v[168:169], v[4:5], v[168:169]
	s_mov_b32 s36, 0x3f52af12
	v_pk_add_f32 v[168:169], v[174:175], v[168:169]
	v_pk_mul_f32 v[174:175], v[132:133], s[34:35] op_sel_hi:[1,0]
	v_pk_mul_f32 v[196:197], v[128:129], s[28:29] op_sel_hi:[1,0]
	v_pk_fma_f32 v[176:177], v[130:131], s[10:11], v[174:175] op_sel:[0,0,1] op_sel_hi:[1,0,0]
	v_pk_fma_f32 v[174:175], v[130:131], s[10:11], v[174:175] op_sel:[0,0,1] op_sel_hi:[1,0,0] neg_lo:[0,0,1] neg_hi:[0,0,1]
	v_mov_b32_e32 v178, v176
	v_mov_b32_e32 v179, v175
	v_pk_add_f32 v[168:169], v[178:179], v[168:169]
	v_pk_mul_f32 v[178:179], v[138:139], s[30:31] op_sel_hi:[1,0]
	s_mov_b32 s30, 0x3e750f2a
	v_pk_fma_f32 v[180:181], v[134:135], s[2:3], v[178:179] op_sel:[0,0,1] op_sel_hi:[1,0,0]
	v_pk_fma_f32 v[178:179], v[134:135], s[2:3], v[178:179] op_sel:[0,0,1] op_sel_hi:[1,0,0] neg_lo:[0,0,1] neg_hi:[0,0,1]
	v_mov_b32_e32 v182, v180
	v_mov_b32_e32 v183, v179
	v_pk_add_f32 v[168:169], v[182:183], v[168:169]
	v_pk_mul_f32 v[182:183], v[108:109], s[30:31] op_sel_hi:[1,0]
	v_pk_fma_f32 v[198:199], v[126:127], s[2:3], v[196:197] op_sel:[0,0,1] op_sel_hi:[1,0,0]
	v_pk_fma_f32 v[184:185], v[98:99], s[24:25], v[182:183] op_sel:[0,0,1] op_sel_hi:[1,0,0]
	v_pk_fma_f32 v[182:183], v[98:99], s[24:25], v[182:183] op_sel:[0,0,1] op_sel_hi:[1,0,0] neg_lo:[0,0,1] neg_hi:[0,0,1]
	v_mov_b32_e32 v186, v184
	v_mov_b32_e32 v187, v183
	v_pk_add_f32 v[168:169], v[186:187], v[168:169]
	v_pk_mul_f32 v[186:187], v[64:65], s[36:37] op_sel_hi:[1,0]
	v_pk_fma_f32 v[196:197], v[126:127], s[2:3], v[196:197] op_sel:[0,0,1] op_sel_hi:[1,0,0] neg_lo:[0,0,1] neg_hi:[0,0,1]
	v_pk_fma_f32 v[188:189], v[56:57], s[8:9], v[186:187] op_sel:[0,0,1] op_sel_hi:[1,0,0]
	v_pk_fma_f32 v[186:187], v[56:57], s[8:9], v[186:187] op_sel:[0,0,1] op_sel_hi:[1,0,0] neg_lo:[0,0,1] neg_hi:[0,0,1]
	v_mov_b32_e32 v190, v188
	v_mov_b32_e32 v191, v187
	v_pk_add_f32 v[168:169], v[190:191], v[168:169]
	v_pk_mul_f32 v[190:191], v[124:125], s[20:21] op_sel_hi:[1,0]
	v_mov_b32_e32 v200, v198
	v_pk_fma_f32 v[192:193], v[122:123], s[18:19], v[190:191] op_sel:[0,0,1] op_sel_hi:[1,0,0]
	v_pk_fma_f32 v[190:191], v[122:123], s[18:19], v[190:191] op_sel:[0,0,1] op_sel_hi:[1,0,0] neg_lo:[0,0,1] neg_hi:[0,0,1]
	v_mov_b32_e32 v194, v192
	v_mov_b32_e32 v195, v191
	v_pk_add_f32 v[194:195], v[4:5], v[194:195]
	v_mov_b32_e32 v201, v197
	v_pk_add_f32 v[194:195], v[200:201], v[194:195]
	v_pk_mul_f32 v[200:201], v[132:133], s[22:23] op_sel_hi:[1,0]
	v_pk_mul_f32 v[124:125], v[124:125], s[26:27] op_sel_hi:[1,0]
	v_pk_fma_f32 v[202:203], v[130:131], s[8:9], v[200:201] op_sel:[0,0,1] op_sel_hi:[1,0,0]
	v_pk_fma_f32 v[200:201], v[130:131], s[8:9], v[200:201] op_sel:[0,0,1] op_sel_hi:[1,0,0] neg_lo:[0,0,1] neg_hi:[0,0,1]
	v_mov_b32_e32 v204, v202
	v_mov_b32_e32 v205, v201
	v_pk_add_f32 v[194:195], v[204:205], v[194:195]
	v_pk_mul_f32 v[204:205], v[138:139], s[30:31] op_sel_hi:[1,0]
	v_pk_mul_f32 v[128:129], v[128:129], s[34:35] op_sel_hi:[1,0]
	v_pk_fma_f32 v[206:207], v[134:135], s[24:25], v[204:205] op_sel:[0,0,1] op_sel_hi:[1,0,0]
	v_pk_fma_f32 v[204:205], v[134:135], s[24:25], v[204:205] op_sel:[0,0,1] op_sel_hi:[1,0,0] neg_lo:[0,0,1] neg_hi:[0,0,1]
	v_mov_b32_e32 v208, v206
	;; [unrolled: 7-line block ×4, first 2 shown]
	v_mov_b32_e32 v217, v213
	v_pk_add_f32 v[194:195], v[216:217], v[194:195]
	ds_write2_b64 v69, v[168:169], v[194:195] offset0:36 offset1:45
	v_pk_fma_f32 v[168:169], v[122:123], s[24:25], v[124:125] op_sel:[0,0,1] op_sel_hi:[1,0,0]
	v_pk_fma_f32 v[122:123], v[122:123], s[24:25], v[124:125] op_sel:[0,0,1] op_sel_hi:[1,0,0] neg_lo:[0,0,1] neg_hi:[0,0,1]
	v_mov_b32_e32 v124, v168
	v_mov_b32_e32 v125, v123
	v_pk_fma_f32 v[194:195], v[126:127], s[10:11], v[128:129] op_sel:[0,0,1] op_sel_hi:[1,0,0]
	v_pk_fma_f32 v[126:127], v[126:127], s[10:11], v[128:129] op_sel:[0,0,1] op_sel_hi:[1,0,0] neg_lo:[0,0,1] neg_hi:[0,0,1]
	v_pk_add_f32 v[124:125], v[4:5], v[124:125]
	v_mov_b32_e32 v128, v194
	v_mov_b32_e32 v129, v127
	v_pk_add_f32 v[124:125], v[128:129], v[124:125]
	v_pk_mul_f32 v[128:129], v[132:133], s[20:21] op_sel_hi:[1,0]
	v_mov_b32_e32 v123, v169
	v_pk_fma_f32 v[132:133], v[130:131], s[18:19], v[128:129] op_sel:[0,0,1] op_sel_hi:[1,0,0]
	v_pk_fma_f32 v[128:129], v[130:131], s[18:19], v[128:129] op_sel:[0,0,1] op_sel_hi:[1,0,0] neg_lo:[0,0,1] neg_hi:[0,0,1]
	v_mov_b32_e32 v130, v132
	v_mov_b32_e32 v131, v129
	v_pk_add_f32 v[124:125], v[130:131], v[124:125]
	v_pk_mul_f32 v[130:131], v[138:139], s[36:37] op_sel_hi:[1,0]
	v_mov_b32_e32 v127, v195
	v_pk_fma_f32 v[138:139], v[134:135], s[8:9], v[130:131] op_sel:[0,0,1] op_sel_hi:[1,0,0]
	v_pk_fma_f32 v[130:131], v[134:135], s[8:9], v[130:131] op_sel:[0,0,1] op_sel_hi:[1,0,0] neg_lo:[0,0,1] neg_hi:[0,0,1]
	v_mov_b32_e32 v134, v138
	v_mov_b32_e32 v135, v131
	v_pk_add_f32 v[124:125], v[134:135], v[124:125]
	v_pk_fma_f32 v[134:135], v[98:99], s[14:15], v[108:109] op_sel:[0,0,1] op_sel_hi:[1,0,0]
	v_pk_fma_f32 v[98:99], v[98:99], s[14:15], v[108:109] op_sel:[0,0,1] op_sel_hi:[1,0,0] neg_lo:[0,0,1] neg_hi:[0,0,1]
	v_mov_b32_e32 v108, v134
	v_mov_b32_e32 v109, v99
	v_pk_add_f32 v[108:109], v[108:109], v[124:125]
	;; [unrolled: 5-line block ×3, first 2 shown]
	v_pk_add_f32 v[108:109], v[4:5], v[122:123]
	v_mov_b32_e32 v129, v133
	v_pk_add_f32 v[108:109], v[126:127], v[108:109]
	v_mov_b32_e32 v131, v139
	;; [unrolled: 2-line block ×6, first 2 shown]
	ds_write2_b64 v69, v[64:65], v[56:57] offset0:54 offset1:63
	v_pk_add_f32 v[56:57], v[4:5], v[190:191]
	v_mov_b32_e32 v197, v199
	v_pk_add_f32 v[64:65], v[4:5], v[116:117]
	v_mov_b32_e32 v171, v173
	;; [unrolled: 2-line block ×10, first 2 shown]
	v_pk_add_f32 v[56:57], v[212:213], v[56:57]
	v_pk_add_f32 v[64:65], v[186:187], v[64:65]
	v_mov_b32_e32 v143, v145
	v_mov_b32_e32 v31, v29
	v_mov_b32_e32 v7, v3
	ds_write2_b64 v69, v[56:57], v[64:65] offset0:72 offset1:81
	v_pk_add_f32 v[56:57], v[4:5], v[142:143]
	v_mov_b32_e32 v149, v151
	v_pk_add_f32 v[28:29], v[4:5], v[30:31]
	v_mov_b32_e32 v35, v33
	;; [unrolled: 2-line block ×15, first 2 shown]
	v_pk_add_f32 v[56:57], v[164:165], v[56:57]
	v_pk_add_f32 v[28:29], v[136:137], v[28:29]
	;; [unrolled: 1-line block ×3, first 2 shown]
	ds_write2_b64 v69, v[56:57], v[28:29] offset0:90 offset1:99
	ds_write_b64 v69, v[2:3] offset:864
.LBB0_9:
	s_or_b64 exec, exec, s[0:1]
	v_add_u32_e32 v32, 0x400, v68
	s_waitcnt lgkmcnt(0)
	s_barrier
	ds_read2_b64 v[2:5], v32 offset0:106 offset1:223
	v_add_u32_e32 v33, 0x1400, v68
	ds_read2_b64 v[10:13], v33 offset0:62 offset1:179
	ds_read2_b64 v[6:9], v68 offset1:117
	v_add_u32_e32 v34, 0xc00, v68
	s_waitcnt lgkmcnt(2)
	v_pk_mul_f32 v[14:15], v[36:37], v[4:5]
	s_mov_b32 s0, 0x3f5db3d7
	v_pk_fma_f32 v[16:17], v[102:103], v[4:5], v[14:15] op_sel:[0,0,1] op_sel_hi:[1,1,0]
	v_pk_fma_f32 v[4:5], v[102:103], v[4:5], v[14:15] op_sel:[0,0,1] op_sel_hi:[1,1,0] neg_lo:[0,0,1] neg_hi:[0,0,1]
	v_mov_b32_e32 v18, s12
	v_mov_b32_e32 v17, v5
	s_waitcnt lgkmcnt(1)
	v_pk_mul_f32 v[4:5], v[38:39], v[10:11]
	v_mov_b32_e32 v19, s13
	v_pk_fma_f32 v[14:15], v[100:101], v[10:11], v[4:5] op_sel:[0,0,1] op_sel_hi:[1,1,0]
	v_pk_fma_f32 v[4:5], v[100:101], v[10:11], v[4:5] op_sel:[0,0,1] op_sel_hi:[1,1,0] neg_lo:[0,0,1] neg_hi:[0,0,1]
	s_nop 0
	v_mov_b32_e32 v15, v5
	s_waitcnt lgkmcnt(0)
	v_pk_add_f32 v[4:5], v[6:7], v[16:17]
	s_nop 0
	v_pk_add_f32 v[10:11], v[4:5], v[14:15]
	v_pk_add_f32 v[4:5], v[16:17], v[14:15]
	v_pk_add_f32 v[14:15], v[16:17], v[14:15] neg_lo:[0,1] neg_hi:[0,1]
	v_pk_fma_f32 v[20:21], v[4:5], 0.5, v[6:7] op_sel_hi:[1,0,1] neg_lo:[1,0,0] neg_hi:[1,0,0]
	ds_read2_b64 v[4:7], v34 offset0:84 offset1:201
	v_pk_mul_f32 v[14:15], v[14:15], s[0:1] op_sel_hi:[1,0]
	s_waitcnt lgkmcnt(0)
	v_pk_mul_f32 v[22:23], v[40:41], v[6:7]
	v_pk_add_f32 v[16:17], v[20:21], v[14:15] op_sel:[0,1] op_sel_hi:[1,0] neg_lo:[0,1] neg_hi:[0,1]
	v_pk_add_f32 v[14:15], v[20:21], v[14:15] op_sel:[0,1] op_sel_hi:[1,0]
	ds_read_b64 v[20:21], v68 offset:7488
	v_pk_fma_f32 v[24:25], v[106:107], v[6:7], v[22:23] op_sel:[0,0,1] op_sel_hi:[1,1,0]
	v_pk_fma_f32 v[6:7], v[106:107], v[6:7], v[22:23] op_sel:[0,0,1] op_sel_hi:[1,1,0] neg_lo:[0,0,1] neg_hi:[0,0,1]
	s_waitcnt lgkmcnt(0)
	v_mov_b32_e32 v25, v7
	v_pk_mul_f32 v[6:7], v[42:43], v[20:21]
	s_barrier
	v_pk_fma_f32 v[22:23], v[104:105], v[20:21], v[6:7] op_sel:[0,0,1] op_sel_hi:[1,1,0]
	v_pk_fma_f32 v[6:7], v[104:105], v[20:21], v[6:7] op_sel:[0,0,1] op_sel_hi:[1,1,0] neg_lo:[0,0,1] neg_hi:[0,0,1]
	s_nop 0
	v_mov_b32_e32 v23, v7
	v_pk_add_f32 v[6:7], v[24:25], v[22:23]
	v_pk_add_f32 v[20:21], v[24:25], v[22:23] neg_lo:[0,1] neg_hi:[0,1]
	v_pk_fma_f32 v[6:7], v[6:7], 0.5, v[2:3] op_sel_hi:[1,0,1] neg_lo:[1,0,0] neg_hi:[1,0,0]
	v_pk_mul_f32 v[20:21], v[20:21], s[0:1] op_sel_hi:[1,0]
	v_pk_add_f32 v[2:3], v[2:3], v[24:25]
	v_pk_add_f32 v[26:27], v[6:7], v[20:21] op_sel:[0,1] op_sel_hi:[1,0]
	v_pk_add_f32 v[6:7], v[6:7], v[20:21] op_sel:[0,1] op_sel_hi:[1,0] neg_lo:[0,1] neg_hi:[0,1]
	v_pk_mul_f32 v[20:21], v[36:37], v[4:5]
	v_pk_add_f32 v[2:3], v[2:3], v[22:23]
	v_pk_fma_f32 v[28:29], v[102:103], v[4:5], v[20:21] op_sel:[0,0,1] op_sel_hi:[1,1,0]
	v_pk_fma_f32 v[4:5], v[102:103], v[4:5], v[20:21] op_sel:[0,0,1] op_sel_hi:[1,1,0] neg_lo:[0,0,1] neg_hi:[0,0,1]
	s_nop 0
	v_mov_b32_e32 v29, v5
	v_pk_mul_f32 v[4:5], v[38:39], v[12:13]
	s_nop 0
	v_pk_fma_f32 v[20:21], v[100:101], v[12:13], v[4:5] op_sel:[0,0,1] op_sel_hi:[1,1,0]
	v_pk_fma_f32 v[4:5], v[100:101], v[12:13], v[4:5] op_sel:[0,0,1] op_sel_hi:[1,1,0] neg_lo:[0,0,1] neg_hi:[0,0,1]
	s_nop 0
	v_mov_b32_e32 v21, v5
	v_pk_add_f32 v[4:5], v[28:29], v[20:21]
	v_pk_add_f32 v[12:13], v[28:29], v[20:21] neg_lo:[0,1] neg_hi:[0,1]
	v_pk_fma_f32 v[4:5], v[4:5], 0.5, v[8:9] op_sel_hi:[1,0,1] neg_lo:[1,0,0] neg_hi:[1,0,0]
	v_pk_mul_f32 v[12:13], v[12:13], s[0:1] op_sel_hi:[1,0]
	v_pk_add_f32 v[8:9], v[8:9], v[28:29]
	v_pk_add_f32 v[30:31], v[4:5], v[12:13] op_sel:[0,1] op_sel_hi:[1,0]
	v_pk_add_f32 v[4:5], v[4:5], v[12:13] op_sel:[0,1] op_sel_hi:[1,0] neg_lo:[0,1] neg_hi:[0,1]
	v_mov_b32_e32 v12, v16
	v_mov_b32_e32 v13, v15
	;; [unrolled: 1-line block ×3, first 2 shown]
	v_pk_add_f32 v[8:9], v[8:9], v[20:21]
	ds_write2_b64 v68, v[10:11], v[12:13] offset1:117
	ds_write2_b64 v32, v[14:15], v[8:9] offset0:106 offset1:223
	v_mov_b32_e32 v8, v4
	v_mov_b32_e32 v9, v31
	;; [unrolled: 1-line block ×5, first 2 shown]
	v_add_u32_e32 v6, 0x1400, v114
	v_mov_b32_e32 v27, v7
	ds_write2_b64 v34, v[8:9], v[30:31] offset0:84 offset1:201
	ds_write2_b64 v6, v[2:3], v[4:5] offset0:62 offset1:179
	ds_write_b64 v114, v[26:27] offset:7488
	s_waitcnt lgkmcnt(0)
	s_barrier
	ds_read2_b64 v[2:5], v32 offset0:106 offset1:223
	ds_read2_b64 v[6:9], v68 offset1:117
	ds_read2_b64 v[10:13], v33 offset0:62 offset1:179
	v_mad_u64_u32 v[20:21], s[2:3], s6, v78, 0
	s_mul_i32 s6, s5, 0xaf8
	s_waitcnt lgkmcnt(2)
	v_pk_mul_f32 v[14:15], v[52:53], v[4:5]
	s_nop 0
	v_pk_fma_f32 v[22:23], v[96:97], v[4:5], v[14:15] op_sel:[0,0,1] op_sel_hi:[1,1,0]
	v_pk_fma_f32 v[4:5], v[96:97], v[4:5], v[14:15] op_sel:[0,0,1] op_sel_hi:[1,1,0] neg_lo:[0,0,1] neg_hi:[0,0,1]
	ds_read2_b64 v[14:17], v34 offset0:84 offset1:201
	v_mov_b32_e32 v23, v5
	s_waitcnt lgkmcnt(1)
	v_pk_mul_f32 v[4:5], v[54:55], v[10:11]
	s_waitcnt lgkmcnt(0)
	v_pk_mul_f32 v[28:29], v[44:45], v[16:17]
	v_pk_fma_f32 v[24:25], v[94:95], v[10:11], v[4:5] op_sel:[0,0,1] op_sel_hi:[1,1,0]
	v_pk_fma_f32 v[4:5], v[94:95], v[10:11], v[4:5] op_sel:[0,0,1] op_sel_hi:[1,1,0] neg_lo:[0,0,1] neg_hi:[0,0,1]
	v_pk_mul_f32 v[10:11], v[48:49], v[14:15]
	v_pk_fma_f32 v[30:31], v[60:61], v[16:17], v[28:29] op_sel:[0,0,1] op_sel_hi:[1,1,0]
	v_pk_fma_f32 v[26:27], v[92:93], v[14:15], v[10:11] op_sel:[0,0,1] op_sel_hi:[1,1,0]
	v_pk_fma_f32 v[10:11], v[92:93], v[14:15], v[10:11] op_sel:[0,0,1] op_sel_hi:[1,1,0] neg_lo:[0,0,1] neg_hi:[0,0,1]
	v_pk_fma_f32 v[16:17], v[60:61], v[16:17], v[28:29] op_sel:[0,0,1] op_sel_hi:[1,1,0] neg_lo:[0,0,1] neg_hi:[0,0,1]
	v_mov_b32_e32 v27, v11
	v_pk_mul_f32 v[10:11], v[50:51], v[12:13]
	v_mov_b32_e32 v25, v5
	v_pk_fma_f32 v[14:15], v[66:67], v[12:13], v[10:11] op_sel:[0,0,1] op_sel_hi:[1,1,0]
	v_pk_fma_f32 v[10:11], v[66:67], v[12:13], v[10:11] op_sel:[0,0,1] op_sel_hi:[1,1,0] neg_lo:[0,0,1] neg_hi:[0,0,1]
	ds_read_b64 v[12:13], v68 offset:7488
	v_mov_b32_e32 v31, v17
	v_pk_add_f32 v[4:5], v[6:7], v[22:23]
	v_mov_b32_e32 v15, v11
	v_pk_add_f32 v[4:5], v[4:5], v[24:25]
	s_waitcnt lgkmcnt(0)
	v_pk_mul_f32 v[16:17], v[46:47], v[12:13]
	v_pk_add_f32 v[10:11], v[8:9], v[26:27]
	v_pk_fma_f32 v[28:29], v[0:1], v[12:13], v[16:17] op_sel:[0,0,1] op_sel_hi:[1,1,0]
	v_pk_fma_f32 v[0:1], v[0:1], v[12:13], v[16:17] op_sel:[0,0,1] op_sel_hi:[1,1,0] neg_lo:[0,0,1] neg_hi:[0,0,1]
	v_pk_add_f32 v[12:13], v[22:23], v[24:25]
	v_mov_b32_e32 v29, v1
	v_pk_fma_f32 v[6:7], v[12:13], 0.5, v[6:7] op_sel_hi:[1,0,1] neg_lo:[1,0,0] neg_hi:[1,0,0]
	v_pk_add_f32 v[12:13], v[22:23], v[24:25] neg_lo:[0,1] neg_hi:[0,1]
	v_pk_add_f32 v[0:1], v[2:3], v[30:31]
	v_pk_mul_f32 v[12:13], v[12:13], s[0:1] op_sel_hi:[1,0]
	v_pk_add_f32 v[0:1], v[0:1], v[28:29]
	v_pk_add_f32 v[16:17], v[6:7], v[12:13] op_sel:[0,1] op_sel_hi:[1,0] neg_lo:[0,1] neg_hi:[0,1]
	v_pk_add_f32 v[6:7], v[6:7], v[12:13] op_sel:[0,1] op_sel_hi:[1,0]
	v_mov_b32_e32 v12, v16
	v_mov_b32_e32 v13, v7
	;; [unrolled: 1-line block ×3, first 2 shown]
	v_pk_add_f32 v[10:11], v[10:11], v[14:15]
	ds_write_b64 v68, v[12:13] offset:2808
	ds_write_b64 v68, v[6:7] offset:5616
	ds_write2_b64 v68, v[4:5], v[10:11] offset1:117
	v_pk_add_f32 v[4:5], v[26:27], v[14:15]
	v_pk_add_f32 v[6:7], v[26:27], v[14:15] neg_lo:[0,1] neg_hi:[0,1]
	ds_write_b64 v68, v[0:1] offset:1872
	v_pk_add_f32 v[0:1], v[30:31], v[28:29]
	v_pk_fma_f32 v[4:5], v[4:5], 0.5, v[8:9] op_sel_hi:[1,0,1] neg_lo:[1,0,0] neg_hi:[1,0,0]
	v_pk_mul_f32 v[6:7], v[6:7], s[0:1] op_sel_hi:[1,0]
	v_pk_fma_f32 v[0:1], v[0:1], 0.5, v[2:3] op_sel_hi:[1,0,1] neg_lo:[1,0,0] neg_hi:[1,0,0]
	v_pk_add_f32 v[2:3], v[30:31], v[28:29] neg_lo:[0,1] neg_hi:[0,1]
	v_pk_add_f32 v[8:9], v[4:5], v[6:7] op_sel:[0,1] op_sel_hi:[1,0] neg_lo:[0,1] neg_hi:[0,1]
	v_pk_add_f32 v[4:5], v[4:5], v[6:7] op_sel:[0,1] op_sel_hi:[1,0]
	v_pk_mul_f32 v[2:3], v[2:3], s[0:1] op_sel_hi:[1,0]
	v_mov_b32_e32 v6, v8
	v_mov_b32_e32 v7, v5
	;; [unrolled: 1-line block ×3, first 2 shown]
	v_pk_add_f32 v[8:9], v[0:1], v[2:3] op_sel:[0,1] op_sel_hi:[1,0] neg_lo:[0,1] neg_hi:[0,1]
	v_pk_add_f32 v[0:1], v[0:1], v[2:3] op_sel:[0,1] op_sel_hi:[1,0]
	v_mov_b32_e32 v2, v8
	v_mov_b32_e32 v3, v1
	ds_write2_b64 v34, v[6:7], v[2:3] offset0:84 offset1:201
	v_mov_b32_e32 v1, v9
	v_add_u32_e32 v2, 0x1800, v68
	ds_write2_b64 v2, v[4:5], v[0:1] offset0:51 offset1:168
	s_waitcnt lgkmcnt(0)
	s_barrier
	ds_read2_b64 v[0:3], v68 offset1:117
	v_mov_b32_e32 v4, v21
	v_mad_u64_u32 v[4:5], s[0:1], s7, v78, v[4:5]
	v_mov_b32_e32 v21, v4
	s_waitcnt lgkmcnt(0)
	v_mul_f32_e32 v4, v91, v1
	v_fmac_f32_e32 v4, v90, v0
	v_mul_f32_e32 v0, v91, v0
	s_mov_b32 s0, 0xad57473c
	v_fma_f32 v0, v90, v1, -v0
	s_mov_b32 s1, 0x3f4f1e63
	v_cvt_f64_f32_e32 v[0:1], v0
	v_cvt_f64_f32_e32 v[4:5], v4
	v_mul_f64 v[0:1], v[0:1], s[0:1]
	v_mul_f64 v[4:5], v[4:5], s[0:1]
	v_cvt_f32_f64_e32 v9, v[0:1]
	v_mad_u64_u32 v[0:1], s[2:3], s4, v82, 0
	v_cvt_f32_f64_e32 v8, v[4:5]
	v_mov_b32_e32 v4, v1
	v_mad_u64_u32 v[10:11], s[2:3], s5, v82, v[4:5]
	ds_read2_b64 v[4:7], v32 offset0:106 offset1:223
	v_mov_b32_e32 v1, v10
	v_lshl_add_u64 v[10:11], v[20:21], 3, v[18:19]
	v_lshl_add_u64 v[0:1], v[0:1], 3, v[10:11]
	global_store_dwordx2 v[0:1], v[8:9], off
	s_waitcnt lgkmcnt(0)
	v_mul_f32_e32 v8, v89, v7
	v_fmac_f32_e32 v8, v88, v6
	v_mul_f32_e32 v6, v89, v6
	v_fma_f32 v6, v88, v7, -v6
	v_cvt_f64_f32_e32 v[8:9], v8
	v_cvt_f64_f32_e32 v[6:7], v6
	v_mul_f64 v[8:9], v[8:9], s[0:1]
	v_mul_f64 v[6:7], v[6:7], s[0:1]
	v_cvt_f32_f64_e32 v10, v[8:9]
	v_cvt_f32_f64_e32 v11, v[6:7]
	ds_read2_b64 v[6:9], v33 offset0:62 offset1:179
	v_mov_b32_e32 v12, 0xaf8
	v_mad_u64_u32 v[0:1], s[2:3], s4, v12, v[0:1]
	v_add_u32_e32 v1, s6, v1
	global_store_dwordx2 v[0:1], v[10:11], off
	s_waitcnt lgkmcnt(0)
	v_mul_f32_e32 v10, v85, v7
	v_fmac_f32_e32 v10, v84, v6
	v_mul_f32_e32 v6, v85, v6
	v_fma_f32 v6, v84, v7, -v6
	v_cvt_f64_f32_e32 v[10:11], v10
	v_cvt_f64_f32_e32 v[6:7], v6
	v_mul_f64 v[10:11], v[10:11], s[0:1]
	v_mul_f64 v[6:7], v[6:7], s[0:1]
	v_cvt_f32_f64_e32 v10, v[10:11]
	v_cvt_f32_f64_e32 v11, v[6:7]
	v_mul_f32_e32 v6, v87, v3
	v_fmac_f32_e32 v6, v86, v2
	v_mul_f32_e32 v2, v87, v2
	v_fma_f32 v2, v86, v3, -v2
	v_mad_u64_u32 v[0:1], s[2:3], s4, v12, v[0:1]
	v_cvt_f64_f32_e32 v[6:7], v6
	v_cvt_f64_f32_e32 v[2:3], v2
	v_add_u32_e32 v1, s6, v1
	v_mul_f64 v[6:7], v[6:7], s[0:1]
	v_mul_f64 v[2:3], v[2:3], s[0:1]
	v_mov_b32_e32 v13, 0xffffedb8
	global_store_dwordx2 v[0:1], v[10:11], off
	v_cvt_f32_f64_e32 v6, v[6:7]
	v_cvt_f32_f64_e32 v7, v[2:3]
	v_mad_u64_u32 v[10:11], s[2:3], s4, v13, v[0:1]
	ds_read2_b64 v[0:3], v34 offset0:84 offset1:201
	s_mul_i32 s2, s5, 0xffffedb8
	s_sub_i32 s5, s2, s4
	v_add_u32_e32 v11, s5, v11
	global_store_dwordx2 v[10:11], v[6:7], off
	s_waitcnt lgkmcnt(0)
	v_mul_f32_e32 v6, v77, v1
	v_fmac_f32_e32 v6, v76, v0
	v_mul_f32_e32 v0, v77, v0
	v_fma_f32 v0, v76, v1, -v0
	v_cvt_f64_f32_e32 v[6:7], v6
	v_cvt_f64_f32_e32 v[0:1], v0
	v_mul_f64 v[6:7], v[6:7], s[0:1]
	v_mul_f64 v[0:1], v[0:1], s[0:1]
	v_cvt_f32_f64_e32 v6, v[6:7]
	v_cvt_f32_f64_e32 v7, v[0:1]
	v_mad_u64_u32 v[0:1], s[2:3], s4, v12, v[10:11]
	v_add_u32_e32 v1, s6, v1
	global_store_dwordx2 v[0:1], v[6:7], off
	v_mul_f32_e32 v6, v75, v9
	v_fmac_f32_e32 v6, v74, v8
	v_cvt_f64_f32_e32 v[6:7], v6
	v_mul_f64 v[6:7], v[6:7], s[0:1]
	v_cvt_f32_f64_e32 v6, v[6:7]
	v_mul_f32_e32 v7, v75, v8
	v_fma_f32 v7, v74, v9, -v7
	v_cvt_f64_f32_e32 v[8:9], v7
	v_mul_f64 v[8:9], v[8:9], s[0:1]
	v_mad_u64_u32 v[0:1], s[2:3], s4, v12, v[0:1]
	v_cvt_f32_f64_e32 v7, v[8:9]
	v_add_u32_e32 v1, s6, v1
	global_store_dwordx2 v[0:1], v[6:7], off
	v_mul_f32_e32 v6, v73, v5
	v_fmac_f32_e32 v6, v72, v4
	v_mul_f32_e32 v4, v73, v4
	v_fma_f32 v4, v72, v5, -v4
	v_cvt_f64_f32_e32 v[6:7], v6
	v_cvt_f64_f32_e32 v[4:5], v4
	v_mul_f64 v[6:7], v[6:7], s[0:1]
	v_mul_f64 v[4:5], v[4:5], s[0:1]
	v_cvt_f32_f64_e32 v6, v[6:7]
	v_cvt_f32_f64_e32 v7, v[4:5]
	v_mul_f32_e32 v4, v81, v3
	v_fmac_f32_e32 v4, v80, v2
	v_mul_f32_e32 v2, v81, v2
	v_fma_f32 v2, v80, v3, -v2
	v_cvt_f64_f32_e32 v[4:5], v4
	v_cvt_f64_f32_e32 v[2:3], v2
	v_mul_f64 v[4:5], v[4:5], s[0:1]
	v_mul_f64 v[2:3], v[2:3], s[0:1]
	v_cvt_f32_f64_e32 v4, v[4:5]
	v_cvt_f32_f64_e32 v5, v[2:3]
	ds_read_b64 v[2:3], v68 offset:7488
	v_mad_u64_u32 v[0:1], s[2:3], s4, v13, v[0:1]
	v_add_u32_e32 v1, s5, v1
	global_store_dwordx2 v[0:1], v[6:7], off
	v_mad_u64_u32 v[0:1], s[2:3], s4, v12, v[0:1]
	v_add_u32_e32 v1, s6, v1
	global_store_dwordx2 v[0:1], v[4:5], off
	s_waitcnt lgkmcnt(0)
	v_mul_f32_e32 v4, v71, v3
	v_fmac_f32_e32 v4, v70, v2
	v_mul_f32_e32 v2, v71, v2
	v_fma_f32 v2, v70, v3, -v2
	v_cvt_f64_f32_e32 v[4:5], v4
	v_cvt_f64_f32_e32 v[2:3], v2
	v_mul_f64 v[4:5], v[4:5], s[0:1]
	v_mul_f64 v[2:3], v[2:3], s[0:1]
	v_mad_u64_u32 v[0:1], s[0:1], s4, v12, v[0:1]
	v_cvt_f32_f64_e32 v4, v[4:5]
	v_cvt_f32_f64_e32 v5, v[2:3]
	v_add_u32_e32 v1, s6, v1
	global_store_dwordx2 v[0:1], v[4:5], off
.LBB0_10:
	s_endpgm
	.section	.rodata,"a",@progbits
	.p2align	6, 0x0
	.amdhsa_kernel bluestein_single_back_len1053_dim1_sp_op_CI_CI
		.amdhsa_group_segment_fixed_size 8424
		.amdhsa_private_segment_fixed_size 0
		.amdhsa_kernarg_size 104
		.amdhsa_user_sgpr_count 2
		.amdhsa_user_sgpr_dispatch_ptr 0
		.amdhsa_user_sgpr_queue_ptr 0
		.amdhsa_user_sgpr_kernarg_segment_ptr 1
		.amdhsa_user_sgpr_dispatch_id 0
		.amdhsa_user_sgpr_kernarg_preload_length 0
		.amdhsa_user_sgpr_kernarg_preload_offset 0
		.amdhsa_user_sgpr_private_segment_size 0
		.amdhsa_uses_dynamic_stack 0
		.amdhsa_enable_private_segment 0
		.amdhsa_system_sgpr_workgroup_id_x 1
		.amdhsa_system_sgpr_workgroup_id_y 0
		.amdhsa_system_sgpr_workgroup_id_z 0
		.amdhsa_system_sgpr_workgroup_info 0
		.amdhsa_system_vgpr_workitem_id 0
		.amdhsa_next_free_vgpr 234
		.amdhsa_next_free_sgpr 44
		.amdhsa_accum_offset 236
		.amdhsa_reserve_vcc 1
		.amdhsa_float_round_mode_32 0
		.amdhsa_float_round_mode_16_64 0
		.amdhsa_float_denorm_mode_32 3
		.amdhsa_float_denorm_mode_16_64 3
		.amdhsa_dx10_clamp 1
		.amdhsa_ieee_mode 1
		.amdhsa_fp16_overflow 0
		.amdhsa_tg_split 0
		.amdhsa_exception_fp_ieee_invalid_op 0
		.amdhsa_exception_fp_denorm_src 0
		.amdhsa_exception_fp_ieee_div_zero 0
		.amdhsa_exception_fp_ieee_overflow 0
		.amdhsa_exception_fp_ieee_underflow 0
		.amdhsa_exception_fp_ieee_inexact 0
		.amdhsa_exception_int_div_zero 0
	.end_amdhsa_kernel
	.text
.Lfunc_end0:
	.size	bluestein_single_back_len1053_dim1_sp_op_CI_CI, .Lfunc_end0-bluestein_single_back_len1053_dim1_sp_op_CI_CI
                                        ; -- End function
	.section	.AMDGPU.csdata,"",@progbits
; Kernel info:
; codeLenInByte = 12340
; NumSgprs: 50
; NumVgprs: 234
; NumAgprs: 0
; TotalNumVgprs: 234
; ScratchSize: 0
; MemoryBound: 0
; FloatMode: 240
; IeeeMode: 1
; LDSByteSize: 8424 bytes/workgroup (compile time only)
; SGPRBlocks: 6
; VGPRBlocks: 29
; NumSGPRsForWavesPerEU: 50
; NumVGPRsForWavesPerEU: 234
; AccumOffset: 236
; Occupancy: 2
; WaveLimiterHint : 1
; COMPUTE_PGM_RSRC2:SCRATCH_EN: 0
; COMPUTE_PGM_RSRC2:USER_SGPR: 2
; COMPUTE_PGM_RSRC2:TRAP_HANDLER: 0
; COMPUTE_PGM_RSRC2:TGID_X_EN: 1
; COMPUTE_PGM_RSRC2:TGID_Y_EN: 0
; COMPUTE_PGM_RSRC2:TGID_Z_EN: 0
; COMPUTE_PGM_RSRC2:TIDIG_COMP_CNT: 0
; COMPUTE_PGM_RSRC3_GFX90A:ACCUM_OFFSET: 58
; COMPUTE_PGM_RSRC3_GFX90A:TG_SPLIT: 0
	.text
	.p2alignl 6, 3212836864
	.fill 256, 4, 3212836864
	.type	__hip_cuid_960ba8b857688519,@object ; @__hip_cuid_960ba8b857688519
	.section	.bss,"aw",@nobits
	.globl	__hip_cuid_960ba8b857688519
__hip_cuid_960ba8b857688519:
	.byte	0                               ; 0x0
	.size	__hip_cuid_960ba8b857688519, 1

	.ident	"AMD clang version 19.0.0git (https://github.com/RadeonOpenCompute/llvm-project roc-6.4.0 25133 c7fe45cf4b819c5991fe208aaa96edf142730f1d)"
	.section	".note.GNU-stack","",@progbits
	.addrsig
	.addrsig_sym __hip_cuid_960ba8b857688519
	.amdgpu_metadata
---
amdhsa.kernels:
  - .agpr_count:     0
    .args:
      - .actual_access:  read_only
        .address_space:  global
        .offset:         0
        .size:           8
        .value_kind:     global_buffer
      - .actual_access:  read_only
        .address_space:  global
        .offset:         8
        .size:           8
        .value_kind:     global_buffer
      - .actual_access:  read_only
        .address_space:  global
        .offset:         16
        .size:           8
        .value_kind:     global_buffer
      - .actual_access:  read_only
        .address_space:  global
        .offset:         24
        .size:           8
        .value_kind:     global_buffer
      - .actual_access:  read_only
        .address_space:  global
        .offset:         32
        .size:           8
        .value_kind:     global_buffer
      - .offset:         40
        .size:           8
        .value_kind:     by_value
      - .address_space:  global
        .offset:         48
        .size:           8
        .value_kind:     global_buffer
      - .address_space:  global
        .offset:         56
        .size:           8
        .value_kind:     global_buffer
      - .address_space:  global
        .offset:         64
        .size:           8
        .value_kind:     global_buffer
      - .address_space:  global
        .offset:         72
        .size:           8
        .value_kind:     global_buffer
      - .offset:         80
        .size:           4
        .value_kind:     by_value
      - .address_space:  global
        .offset:         88
        .size:           8
        .value_kind:     global_buffer
      - .address_space:  global
        .offset:         96
        .size:           8
        .value_kind:     global_buffer
    .group_segment_fixed_size: 8424
    .kernarg_segment_align: 8
    .kernarg_segment_size: 104
    .language:       OpenCL C
    .language_version:
      - 2
      - 0
    .max_flat_workgroup_size: 117
    .name:           bluestein_single_back_len1053_dim1_sp_op_CI_CI
    .private_segment_fixed_size: 0
    .sgpr_count:     50
    .sgpr_spill_count: 0
    .symbol:         bluestein_single_back_len1053_dim1_sp_op_CI_CI.kd
    .uniform_work_group_size: 1
    .uses_dynamic_stack: false
    .vgpr_count:     234
    .vgpr_spill_count: 0
    .wavefront_size: 64
amdhsa.target:   amdgcn-amd-amdhsa--gfx950
amdhsa.version:
  - 1
  - 2
...

	.end_amdgpu_metadata
